;; amdgpu-corpus repo=ROCm/rocFFT kind=compiled arch=gfx906 opt=O3
	.text
	.amdgcn_target "amdgcn-amd-amdhsa--gfx906"
	.amdhsa_code_object_version 6
	.protected	fft_rtc_fwd_len1400_factors_2_2_2_5_7_5_wgs_56_tpt_56_halfLds_sp_op_CI_CI_unitstride_sbrr_C2R_dirReg ; -- Begin function fft_rtc_fwd_len1400_factors_2_2_2_5_7_5_wgs_56_tpt_56_halfLds_sp_op_CI_CI_unitstride_sbrr_C2R_dirReg
	.globl	fft_rtc_fwd_len1400_factors_2_2_2_5_7_5_wgs_56_tpt_56_halfLds_sp_op_CI_CI_unitstride_sbrr_C2R_dirReg
	.p2align	8
	.type	fft_rtc_fwd_len1400_factors_2_2_2_5_7_5_wgs_56_tpt_56_halfLds_sp_op_CI_CI_unitstride_sbrr_C2R_dirReg,@function
fft_rtc_fwd_len1400_factors_2_2_2_5_7_5_wgs_56_tpt_56_halfLds_sp_op_CI_CI_unitstride_sbrr_C2R_dirReg: ; @fft_rtc_fwd_len1400_factors_2_2_2_5_7_5_wgs_56_tpt_56_halfLds_sp_op_CI_CI_unitstride_sbrr_C2R_dirReg
; %bb.0:
	s_load_dwordx4 s[8:11], s[4:5], 0x58
	s_load_dwordx4 s[12:15], s[4:5], 0x0
	;; [unrolled: 1-line block ×3, first 2 shown]
	v_mul_u32_u24_e32 v1, 0x493, v0
	v_add_u32_sdwa v5, s6, v1 dst_sel:DWORD dst_unused:UNUSED_PAD src0_sel:DWORD src1_sel:WORD_1
	v_mov_b32_e32 v3, 0
	s_waitcnt lgkmcnt(0)
	v_cmp_lt_u64_e64 s[0:1], s[14:15], 2
	v_mov_b32_e32 v1, 0
	v_mov_b32_e32 v6, v3
	s_and_b64 vcc, exec, s[0:1]
	v_mov_b32_e32 v2, 0
	s_cbranch_vccnz .LBB0_8
; %bb.1:
	s_load_dwordx2 s[0:1], s[4:5], 0x10
	s_add_u32 s2, s18, 8
	s_addc_u32 s3, s19, 0
	s_add_u32 s6, s16, 8
	v_mov_b32_e32 v1, 0
	s_addc_u32 s7, s17, 0
	v_mov_b32_e32 v2, 0
	s_waitcnt lgkmcnt(0)
	s_add_u32 s20, s0, 8
	v_mov_b32_e32 v53, v2
	s_addc_u32 s21, s1, 0
	s_mov_b64 s[22:23], 1
	v_mov_b32_e32 v52, v1
.LBB0_2:                                ; =>This Inner Loop Header: Depth=1
	s_load_dwordx2 s[24:25], s[20:21], 0x0
                                        ; implicit-def: $vgpr56_vgpr57
	s_waitcnt lgkmcnt(0)
	v_or_b32_e32 v4, s25, v6
	v_cmp_ne_u64_e32 vcc, 0, v[3:4]
	s_and_saveexec_b64 s[0:1], vcc
	s_xor_b64 s[26:27], exec, s[0:1]
	s_cbranch_execz .LBB0_4
; %bb.3:                                ;   in Loop: Header=BB0_2 Depth=1
	v_cvt_f32_u32_e32 v4, s24
	v_cvt_f32_u32_e32 v7, s25
	s_sub_u32 s0, 0, s24
	s_subb_u32 s1, 0, s25
	v_mac_f32_e32 v4, 0x4f800000, v7
	v_rcp_f32_e32 v4, v4
	v_mul_f32_e32 v4, 0x5f7ffffc, v4
	v_mul_f32_e32 v7, 0x2f800000, v4
	v_trunc_f32_e32 v7, v7
	v_mac_f32_e32 v4, 0xcf800000, v7
	v_cvt_u32_f32_e32 v7, v7
	v_cvt_u32_f32_e32 v4, v4
	v_mul_lo_u32 v8, s0, v7
	v_mul_hi_u32 v9, s0, v4
	v_mul_lo_u32 v11, s1, v4
	v_mul_lo_u32 v10, s0, v4
	v_add_u32_e32 v8, v9, v8
	v_add_u32_e32 v8, v8, v11
	v_mul_hi_u32 v9, v4, v10
	v_mul_lo_u32 v11, v4, v8
	v_mul_hi_u32 v13, v4, v8
	v_mul_hi_u32 v12, v7, v10
	v_mul_lo_u32 v10, v7, v10
	v_mul_hi_u32 v14, v7, v8
	v_add_co_u32_e32 v9, vcc, v9, v11
	v_addc_co_u32_e32 v11, vcc, 0, v13, vcc
	v_mul_lo_u32 v8, v7, v8
	v_add_co_u32_e32 v9, vcc, v9, v10
	v_addc_co_u32_e32 v9, vcc, v11, v12, vcc
	v_addc_co_u32_e32 v10, vcc, 0, v14, vcc
	v_add_co_u32_e32 v8, vcc, v9, v8
	v_addc_co_u32_e32 v9, vcc, 0, v10, vcc
	v_add_co_u32_e32 v4, vcc, v4, v8
	v_addc_co_u32_e32 v7, vcc, v7, v9, vcc
	v_mul_lo_u32 v8, s0, v7
	v_mul_hi_u32 v9, s0, v4
	v_mul_lo_u32 v10, s1, v4
	v_mul_lo_u32 v11, s0, v4
	v_add_u32_e32 v8, v9, v8
	v_add_u32_e32 v8, v8, v10
	v_mul_lo_u32 v12, v4, v8
	v_mul_hi_u32 v13, v4, v11
	v_mul_hi_u32 v14, v4, v8
	v_mul_hi_u32 v10, v7, v11
	v_mul_lo_u32 v11, v7, v11
	v_mul_hi_u32 v9, v7, v8
	v_add_co_u32_e32 v12, vcc, v13, v12
	v_addc_co_u32_e32 v13, vcc, 0, v14, vcc
	v_mul_lo_u32 v8, v7, v8
	v_add_co_u32_e32 v11, vcc, v12, v11
	v_addc_co_u32_e32 v10, vcc, v13, v10, vcc
	v_addc_co_u32_e32 v9, vcc, 0, v9, vcc
	v_add_co_u32_e32 v8, vcc, v10, v8
	v_addc_co_u32_e32 v9, vcc, 0, v9, vcc
	v_add_co_u32_e32 v4, vcc, v4, v8
	v_addc_co_u32_e32 v9, vcc, v7, v9, vcc
	v_mad_u64_u32 v[7:8], s[0:1], v5, v9, 0
	v_mul_hi_u32 v10, v5, v4
	v_add_co_u32_e32 v11, vcc, v10, v7
	v_addc_co_u32_e32 v12, vcc, 0, v8, vcc
	v_mad_u64_u32 v[7:8], s[0:1], v6, v4, 0
	v_mad_u64_u32 v[9:10], s[0:1], v6, v9, 0
	v_add_co_u32_e32 v4, vcc, v11, v7
	v_addc_co_u32_e32 v4, vcc, v12, v8, vcc
	v_addc_co_u32_e32 v7, vcc, 0, v10, vcc
	v_add_co_u32_e32 v4, vcc, v4, v9
	v_addc_co_u32_e32 v9, vcc, 0, v7, vcc
	v_mul_lo_u32 v10, s25, v4
	v_mul_lo_u32 v11, s24, v9
	v_mad_u64_u32 v[7:8], s[0:1], s24, v4, 0
	v_add3_u32 v8, v8, v11, v10
	v_sub_u32_e32 v10, v6, v8
	v_mov_b32_e32 v11, s25
	v_sub_co_u32_e32 v7, vcc, v5, v7
	v_subb_co_u32_e64 v10, s[0:1], v10, v11, vcc
	v_subrev_co_u32_e64 v11, s[0:1], s24, v7
	v_subbrev_co_u32_e64 v10, s[0:1], 0, v10, s[0:1]
	v_cmp_le_u32_e64 s[0:1], s25, v10
	v_cndmask_b32_e64 v12, 0, -1, s[0:1]
	v_cmp_le_u32_e64 s[0:1], s24, v11
	v_cndmask_b32_e64 v11, 0, -1, s[0:1]
	v_cmp_eq_u32_e64 s[0:1], s25, v10
	v_cndmask_b32_e64 v10, v12, v11, s[0:1]
	v_add_co_u32_e64 v11, s[0:1], 2, v4
	v_addc_co_u32_e64 v12, s[0:1], 0, v9, s[0:1]
	v_add_co_u32_e64 v13, s[0:1], 1, v4
	v_addc_co_u32_e64 v14, s[0:1], 0, v9, s[0:1]
	v_subb_co_u32_e32 v8, vcc, v6, v8, vcc
	v_cmp_ne_u32_e64 s[0:1], 0, v10
	v_cmp_le_u32_e32 vcc, s25, v8
	v_cndmask_b32_e64 v10, v14, v12, s[0:1]
	v_cndmask_b32_e64 v12, 0, -1, vcc
	v_cmp_le_u32_e32 vcc, s24, v7
	v_cndmask_b32_e64 v7, 0, -1, vcc
	v_cmp_eq_u32_e32 vcc, s25, v8
	v_cndmask_b32_e32 v7, v12, v7, vcc
	v_cmp_ne_u32_e32 vcc, 0, v7
	v_cndmask_b32_e64 v7, v13, v11, s[0:1]
	v_cndmask_b32_e32 v57, v9, v10, vcc
	v_cndmask_b32_e32 v56, v4, v7, vcc
.LBB0_4:                                ;   in Loop: Header=BB0_2 Depth=1
	s_andn2_saveexec_b64 s[0:1], s[26:27]
	s_cbranch_execz .LBB0_6
; %bb.5:                                ;   in Loop: Header=BB0_2 Depth=1
	v_cvt_f32_u32_e32 v4, s24
	s_sub_i32 s26, 0, s24
	v_mov_b32_e32 v57, v3
	v_rcp_iflag_f32_e32 v4, v4
	v_mul_f32_e32 v4, 0x4f7ffffe, v4
	v_cvt_u32_f32_e32 v4, v4
	v_mul_lo_u32 v7, s26, v4
	v_mul_hi_u32 v7, v4, v7
	v_add_u32_e32 v4, v4, v7
	v_mul_hi_u32 v4, v5, v4
	v_mul_lo_u32 v7, v4, s24
	v_add_u32_e32 v8, 1, v4
	v_sub_u32_e32 v7, v5, v7
	v_subrev_u32_e32 v9, s24, v7
	v_cmp_le_u32_e32 vcc, s24, v7
	v_cndmask_b32_e32 v7, v7, v9, vcc
	v_cndmask_b32_e32 v4, v4, v8, vcc
	v_add_u32_e32 v8, 1, v4
	v_cmp_le_u32_e32 vcc, s24, v7
	v_cndmask_b32_e32 v56, v4, v8, vcc
.LBB0_6:                                ;   in Loop: Header=BB0_2 Depth=1
	s_or_b64 exec, exec, s[0:1]
	v_mul_lo_u32 v4, v57, s24
	v_mul_lo_u32 v9, v56, s25
	v_mad_u64_u32 v[7:8], s[0:1], v56, s24, 0
	s_load_dwordx2 s[0:1], s[6:7], 0x0
	s_load_dwordx2 s[24:25], s[2:3], 0x0
	v_add3_u32 v4, v8, v9, v4
	v_sub_co_u32_e32 v5, vcc, v5, v7
	v_subb_co_u32_e32 v4, vcc, v6, v4, vcc
	s_waitcnt lgkmcnt(0)
	v_mul_lo_u32 v6, s0, v4
	v_mul_lo_u32 v7, s1, v5
	v_mad_u64_u32 v[1:2], s[0:1], s0, v5, v[1:2]
	v_mul_lo_u32 v4, s24, v4
	v_mul_lo_u32 v8, s25, v5
	v_mad_u64_u32 v[52:53], s[0:1], s24, v5, v[52:53]
	s_add_u32 s22, s22, 1
	s_addc_u32 s23, s23, 0
	s_add_u32 s2, s2, 8
	v_add3_u32 v53, v8, v53, v4
	s_addc_u32 s3, s3, 0
	v_mov_b32_e32 v4, s14
	s_add_u32 s6, s6, 8
	v_mov_b32_e32 v5, s15
	s_addc_u32 s7, s7, 0
	v_cmp_ge_u64_e32 vcc, s[22:23], v[4:5]
	s_add_u32 s20, s20, 8
	v_add3_u32 v2, v7, v2, v6
	s_addc_u32 s21, s21, 0
	s_cbranch_vccnz .LBB0_9
; %bb.7:                                ;   in Loop: Header=BB0_2 Depth=1
	v_mov_b32_e32 v5, v56
	v_mov_b32_e32 v6, v57
	s_branch .LBB0_2
.LBB0_8:
	v_mov_b32_e32 v53, v2
	v_mov_b32_e32 v57, v6
	;; [unrolled: 1-line block ×4, first 2 shown]
.LBB0_9:
	s_load_dwordx2 s[2:3], s[4:5], 0x28
	s_lshl_b64 s[6:7], s[14:15], 3
	s_add_u32 s4, s18, s6
	s_addc_u32 s5, s19, s7
                                        ; implicit-def: $vgpr54
	s_waitcnt lgkmcnt(0)
	v_cmp_gt_u64_e64 s[0:1], s[2:3], v[56:57]
	v_cmp_le_u64_e32 vcc, s[2:3], v[56:57]
	s_and_saveexec_b64 s[2:3], vcc
	s_xor_b64 s[2:3], exec, s[2:3]
; %bb.10:
	s_mov_b32 s14, 0x4924925
	v_mul_hi_u32 v1, v0, s14
	v_mul_u32_u24_e32 v1, 56, v1
	v_sub_u32_e32 v54, v0, v1
                                        ; implicit-def: $vgpr0
                                        ; implicit-def: $vgpr1_vgpr2
; %bb.11:
	s_or_saveexec_b64 s[2:3], s[2:3]
	s_load_dwordx2 s[4:5], s[4:5], 0x0
	s_xor_b64 exec, exec, s[2:3]
	s_cbranch_execz .LBB0_15
; %bb.12:
	s_add_u32 s6, s16, s6
	s_addc_u32 s7, s17, s7
	s_load_dwordx2 s[6:7], s[6:7], 0x0
	s_mov_b32 s14, 0x4924925
	v_mul_hi_u32 v5, v0, s14
	v_lshlrev_b64 v[1:2], 3, v[1:2]
	s_waitcnt lgkmcnt(0)
	v_mul_lo_u32 v6, s7, v56
	v_mul_lo_u32 v7, s6, v57
	v_mad_u64_u32 v[3:4], s[6:7], s6, v56, 0
	v_mul_u32_u24_e32 v5, 56, v5
	v_sub_u32_e32 v54, v0, v5
	v_add3_u32 v4, v4, v7, v6
	v_lshlrev_b64 v[3:4], 3, v[3:4]
	v_mov_b32_e32 v0, s9
	v_add_co_u32_e32 v3, vcc, s8, v3
	v_addc_co_u32_e32 v0, vcc, v0, v4, vcc
	v_add_co_u32_e32 v1, vcc, v3, v1
	v_addc_co_u32_e32 v0, vcc, v0, v2, vcc
	v_lshlrev_b32_e32 v55, 3, v54
	v_add_co_u32_e32 v2, vcc, v1, v55
	v_addc_co_u32_e32 v3, vcc, 0, v0, vcc
	s_movk_i32 s6, 0x1000
	v_add_co_u32_e32 v12, vcc, s6, v2
	v_addc_co_u32_e32 v13, vcc, 0, v3, vcc
	v_or_b32_e32 v30, 0x1c00, v55
	v_add_co_u32_e32 v30, vcc, v1, v30
	v_addc_co_u32_e32 v31, vcc, 0, v0, vcc
	s_movk_i32 s6, 0x2000
	v_add_co_u32_e32 v34, vcc, s6, v2
	global_load_dwordx2 v[4:5], v[2:3], off offset:1792
	global_load_dwordx2 v[6:7], v[2:3], off offset:2240
	;; [unrolled: 1-line block ×13, first 2 shown]
	v_addc_co_u32_e32 v35, vcc, 0, v3, vcc
	global_load_dwordx2 v[36:37], v[2:3], off
	global_load_dwordx2 v[38:39], v[2:3], off offset:448
	global_load_dwordx2 v[40:41], v[2:3], off offset:896
	;; [unrolled: 1-line block ×3, first 2 shown]
	v_or_b32_e32 v2, 0x2a00, v55
	v_add_co_u32_e32 v2, vcc, v1, v2
	v_addc_co_u32_e32 v3, vcc, 0, v0, vcc
	global_load_dwordx2 v[44:45], v[2:3], off
	global_load_dwordx2 v[46:47], v[34:35], off offset:320
	global_load_dwordx2 v[48:49], v[30:31], off
	global_load_dwordx2 v[50:51], v[12:13], off offset:3968
	global_load_dwordx2 v[58:59], v[34:35], off offset:768
	;; [unrolled: 1-line block ×5, first 2 shown]
	v_add_u32_e32 v2, 0, v55
	v_add_u32_e32 v3, 0x400, v2
	v_cmp_eq_u32_e32 vcc, 55, v54
	v_add_u32_e32 v12, 0x800, v2
	v_add_u32_e32 v13, 0x1000, v2
	;; [unrolled: 1-line block ×6, first 2 shown]
	s_waitcnt vmcnt(23)
	ds_write2_b64 v3, v[4:5], v[6:7] offset0:96 offset1:152
	s_waitcnt vmcnt(21)
	ds_write2_b64 v12, v[8:9], v[10:11] offset0:80 offset1:136
	s_waitcnt vmcnt(19)
	ds_write2_b64 v12, v[14:15], v[16:17] offset0:192 offset1:248
	s_waitcnt vmcnt(10)
	ds_write2_b64 v2, v[36:37], v[38:39] offset1:56
	s_waitcnt vmcnt(8)
	ds_write2_b64 v2, v[40:41], v[42:43] offset0:112 offset1:168
	s_waitcnt vmcnt(7)
	ds_write_b64 v2, v[44:45] offset:10752
	ds_write2_b64 v13, v[18:19], v[20:21] offset0:48 offset1:104
	ds_write2_b64 v13, v[22:23], v[24:25] offset0:160 offset1:216
	;; [unrolled: 1-line block ×3, first 2 shown]
	s_waitcnt vmcnt(5)
	ds_write2_b64 v30, v[48:49], v[32:33] offset0:128 offset1:184
	s_waitcnt vmcnt(4)
	ds_write2_b64 v31, v[50:51], v[46:47] offset0:112 offset1:168
	;; [unrolled: 2-line block ×4, first 2 shown]
	s_and_saveexec_b64 s[6:7], vcc
	s_cbranch_execz .LBB0_14
; %bb.13:
	v_add_co_u32_e32 v1, vcc, 0x2000, v1
	v_addc_co_u32_e32 v2, vcc, 0, v0, vcc
	global_load_dwordx2 v[0:1], v[1:2], off offset:3008
	v_mov_b32_e32 v2, 0
	v_mov_b32_e32 v54, 55
	s_waitcnt vmcnt(0)
	ds_write_b64 v2, v[0:1] offset:11200
.LBB0_14:
	s_or_b64 exec, exec, s[6:7]
.LBB0_15:
	s_or_b64 exec, exec, s[2:3]
	v_lshlrev_b32_e32 v0, 3, v54
	v_add_u32_e32 v64, 0, v0
	s_waitcnt lgkmcnt(0)
	; wave barrier
	s_waitcnt lgkmcnt(0)
	v_sub_u32_e32 v4, 0, v0
	ds_read_b32 v5, v64
	ds_read_b32 v6, v4 offset:11200
	s_add_u32 s6, s12, 0x2bb0
	s_addc_u32 s7, s13, 0
	v_cmp_ne_u32_e32 vcc, 0, v54
                                        ; implicit-def: $vgpr0_vgpr1
	s_waitcnt lgkmcnt(0)
	v_add_f32_e32 v2, v6, v5
	v_sub_f32_e32 v3, v5, v6
	s_and_saveexec_b64 s[2:3], vcc
	s_xor_b64 s[2:3], exec, s[2:3]
	s_cbranch_execz .LBB0_17
; %bb.16:
	v_mov_b32_e32 v55, 0
	v_lshlrev_b64 v[0:1], 3, v[54:55]
	v_mov_b32_e32 v2, s7
	v_add_co_u32_e32 v0, vcc, s6, v0
	v_addc_co_u32_e32 v1, vcc, v2, v1, vcc
	global_load_dwordx2 v[0:1], v[0:1], off
	ds_read_b32 v2, v4 offset:11204
	ds_read_b32 v3, v64 offset:4
	v_add_f32_e32 v7, v6, v5
	v_sub_f32_e32 v8, v5, v6
	s_waitcnt lgkmcnt(0)
	v_add_f32_e32 v9, v2, v3
	v_sub_f32_e32 v2, v3, v2
	s_waitcnt vmcnt(0)
	v_fma_f32 v10, v8, v1, v7
	v_fma_f32 v3, v9, v1, v2
	v_fma_f32 v5, -v8, v1, v7
	v_fma_f32 v6, v9, v1, -v2
	v_fma_f32 v2, -v0, v9, v10
	v_fmac_f32_e32 v3, v8, v0
	v_fmac_f32_e32 v5, v0, v9
	;; [unrolled: 1-line block ×3, first 2 shown]
	v_mov_b32_e32 v0, v54
	ds_write_b64 v4, v[5:6] offset:11200
	v_mov_b32_e32 v1, v55
.LBB0_17:
	s_andn2_saveexec_b64 s[2:3], s[2:3]
	s_cbranch_execz .LBB0_19
; %bb.18:
	v_mov_b32_e32 v7, 0
	ds_read_b64 v[0:1], v7 offset:5600
	s_waitcnt lgkmcnt(0)
	v_add_f32_e32 v5, v0, v0
	v_mul_f32_e32 v6, -2.0, v1
	v_mov_b32_e32 v0, 0
	v_mov_b32_e32 v1, 0
	ds_write_b64 v7, v[5:6] offset:5600
.LBB0_19:
	s_or_b64 exec, exec, s[2:3]
	v_lshlrev_b64 v[0:1], 3, v[0:1]
	v_mov_b32_e32 v5, s7
	v_add_co_u32_e32 v0, vcc, s6, v0
	v_addc_co_u32_e32 v1, vcc, v5, v1, vcc
	global_load_dwordx2 v[5:6], v[0:1], off offset:448
	global_load_dwordx2 v[7:8], v[0:1], off offset:896
	;; [unrolled: 1-line block ×4, first 2 shown]
	ds_write_b64 v64, v[2:3]
	ds_read_b64 v[2:3], v64 offset:448
	ds_read_b64 v[13:14], v4 offset:10752
	global_load_dwordx2 v[15:16], v[0:1], off offset:2240
	s_movk_i32 s2, 0x1000
	s_waitcnt lgkmcnt(0)
	v_add_f32_e32 v17, v2, v13
	v_add_f32_e32 v18, v14, v3
	v_sub_f32_e32 v19, v2, v13
	v_sub_f32_e32 v2, v3, v14
	s_waitcnt vmcnt(4)
	v_fma_f32 v20, v19, v6, v17
	v_fma_f32 v3, v18, v6, v2
	v_fma_f32 v13, -v19, v6, v17
	v_fma_f32 v14, v18, v6, -v2
	v_fma_f32 v2, -v5, v18, v20
	v_fmac_f32_e32 v3, v19, v5
	v_fmac_f32_e32 v13, v5, v18
	v_fmac_f32_e32 v14, v19, v5
	ds_write_b64 v64, v[2:3] offset:448
	ds_write_b64 v4, v[13:14] offset:10752
	ds_read_b64 v[2:3], v64 offset:896
	ds_read_b64 v[5:6], v4 offset:10304
	global_load_dwordx2 v[13:14], v[0:1], off offset:2688
	s_waitcnt lgkmcnt(0)
	v_add_f32_e32 v17, v2, v5
	v_add_f32_e32 v18, v6, v3
	v_sub_f32_e32 v19, v2, v5
	v_sub_f32_e32 v2, v3, v6
	s_waitcnt vmcnt(4)
	v_fma_f32 v20, v19, v8, v17
	v_fma_f32 v3, v18, v8, v2
	v_fma_f32 v5, -v19, v8, v17
	v_fma_f32 v6, v18, v8, -v2
	v_fma_f32 v2, -v7, v18, v20
	v_fmac_f32_e32 v3, v19, v7
	v_fmac_f32_e32 v5, v7, v18
	v_fmac_f32_e32 v6, v19, v7
	ds_write_b64 v64, v[2:3] offset:896
	ds_write_b64 v4, v[5:6] offset:10304
	ds_read_b64 v[2:3], v64 offset:1344
	ds_read_b64 v[5:6], v4 offset:9856
	global_load_dwordx2 v[7:8], v[0:1], off offset:3136
	;; [unrolled: 19-line block ×4, first 2 shown]
	s_waitcnt lgkmcnt(0)
	v_add_f32_e32 v17, v2, v5
	v_add_f32_e32 v18, v6, v3
	v_sub_f32_e32 v19, v2, v5
	v_sub_f32_e32 v2, v3, v6
	s_waitcnt vmcnt(4)
	v_fma_f32 v20, v19, v16, v17
	v_fma_f32 v3, v18, v16, v2
	v_fma_f32 v5, -v19, v16, v17
	v_fma_f32 v6, v18, v16, -v2
	v_fma_f32 v2, -v15, v18, v20
	v_fmac_f32_e32 v3, v19, v15
	v_fmac_f32_e32 v5, v15, v18
	;; [unrolled: 1-line block ×3, first 2 shown]
	v_add_co_u32_e32 v15, vcc, s2, v0
	ds_write_b64 v64, v[2:3] offset:2240
	ds_write_b64 v4, v[5:6] offset:8960
	v_addc_co_u32_e32 v16, vcc, 0, v1, vcc
	ds_read_b64 v[2:3], v64 offset:2688
	ds_read_b64 v[5:6], v4 offset:8512
	global_load_dwordx2 v[17:18], v[15:16], off offset:384
	v_cmp_gt_u32_e64 s[2:3], 28, v54
	s_waitcnt lgkmcnt(0)
	v_add_f32_e32 v19, v2, v5
	v_add_f32_e32 v20, v6, v3
	v_sub_f32_e32 v21, v2, v5
	v_sub_f32_e32 v2, v3, v6
	s_waitcnt vmcnt(4)
	v_fma_f32 v22, v21, v14, v19
	v_fma_f32 v3, v20, v14, v2
	v_fma_f32 v5, -v21, v14, v19
	v_fma_f32 v6, v20, v14, -v2
	v_fma_f32 v2, -v13, v20, v22
	v_fmac_f32_e32 v3, v21, v13
	v_fmac_f32_e32 v5, v13, v20
	;; [unrolled: 1-line block ×3, first 2 shown]
	ds_write_b64 v64, v[2:3] offset:2688
	ds_write_b64 v4, v[5:6] offset:8512
	ds_read_b64 v[2:3], v64 offset:3136
	ds_read_b64 v[5:6], v4 offset:8064
	global_load_dwordx2 v[13:14], v[15:16], off offset:832
	s_waitcnt lgkmcnt(0)
	v_add_f32_e32 v15, v2, v5
	v_add_f32_e32 v16, v6, v3
	v_sub_f32_e32 v19, v2, v5
	v_sub_f32_e32 v2, v3, v6
	s_waitcnt vmcnt(4)
	v_fma_f32 v20, v19, v8, v15
	v_fma_f32 v3, v16, v8, v2
	v_fma_f32 v5, -v19, v8, v15
	v_fma_f32 v6, v16, v8, -v2
	v_fma_f32 v2, -v7, v16, v20
	v_fmac_f32_e32 v3, v19, v7
	v_fmac_f32_e32 v5, v7, v16
	;; [unrolled: 1-line block ×3, first 2 shown]
	ds_write_b64 v64, v[2:3] offset:3136
	ds_write_b64 v4, v[5:6] offset:8064
	ds_read_b64 v[2:3], v64 offset:3584
	ds_read_b64 v[5:6], v4 offset:7616
	s_waitcnt lgkmcnt(0)
	v_add_f32_e32 v7, v2, v5
	v_add_f32_e32 v8, v6, v3
	v_sub_f32_e32 v15, v2, v5
	v_sub_f32_e32 v2, v3, v6
	s_waitcnt vmcnt(3)
	v_fma_f32 v16, v15, v10, v7
	v_fma_f32 v3, v8, v10, v2
	v_fma_f32 v5, -v15, v10, v7
	v_fma_f32 v6, v8, v10, -v2
	v_fma_f32 v2, -v9, v8, v16
	v_fmac_f32_e32 v3, v15, v9
	v_fmac_f32_e32 v5, v9, v8
	;; [unrolled: 1-line block ×3, first 2 shown]
	ds_write_b64 v64, v[2:3] offset:3584
	ds_write_b64 v4, v[5:6] offset:7616
	ds_read_b64 v[2:3], v64 offset:4032
	ds_read_b64 v[5:6], v4 offset:7168
	s_waitcnt lgkmcnt(0)
	v_add_f32_e32 v7, v2, v5
	v_add_f32_e32 v8, v6, v3
	v_sub_f32_e32 v5, v2, v5
	v_sub_f32_e32 v6, v3, v6
	s_waitcnt vmcnt(2)
	v_fma_f32 v2, v5, v12, v7
	v_fma_f32 v3, v8, v12, v6
	v_fma_f32 v2, -v11, v8, v2
	v_fmac_f32_e32 v3, v5, v11
	ds_write_b64 v64, v[2:3] offset:4032
	v_fma_f32 v2, -v5, v12, v7
	v_fma_f32 v3, v8, v12, -v6
	v_fmac_f32_e32 v2, v11, v8
	v_fmac_f32_e32 v3, v5, v11
	ds_write_b64 v4, v[2:3] offset:7168
	ds_read_b64 v[2:3], v64 offset:4480
	ds_read_b64 v[5:6], v4 offset:6720
	s_waitcnt lgkmcnt(0)
	v_add_f32_e32 v7, v2, v5
	v_add_f32_e32 v8, v6, v3
	v_sub_f32_e32 v5, v2, v5
	v_sub_f32_e32 v6, v3, v6
	s_waitcnt vmcnt(1)
	v_fma_f32 v2, v5, v18, v7
	v_fma_f32 v3, v8, v18, v6
	v_fma_f32 v2, -v17, v8, v2
	v_fmac_f32_e32 v3, v5, v17
	ds_write_b64 v64, v[2:3] offset:4480
	v_fma_f32 v2, -v5, v18, v7
	v_fma_f32 v3, v8, v18, -v6
	v_fmac_f32_e32 v2, v17, v8
	v_fmac_f32_e32 v3, v5, v17
	;; [unrolled: 18-line block ×3, first 2 shown]
	ds_write_b64 v4, v[2:3] offset:6272
	s_and_saveexec_b64 s[6:7], s[2:3]
	s_cbranch_execz .LBB0_21
; %bb.20:
	v_add_co_u32_e32 v0, vcc, 0x1000, v0
	v_addc_co_u32_e32 v1, vcc, 0, v1, vcc
	global_load_dwordx2 v[0:1], v[0:1], off offset:1280
	ds_read_b64 v[2:3], v64 offset:5376
	ds_read_b64 v[5:6], v4 offset:5824
	s_waitcnt lgkmcnt(0)
	v_add_f32_e32 v7, v2, v5
	v_add_f32_e32 v8, v6, v3
	v_sub_f32_e32 v9, v2, v5
	v_sub_f32_e32 v3, v3, v6
	s_waitcnt vmcnt(0)
	v_fma_f32 v10, v9, v1, v7
	v_fma_f32 v2, v8, v1, v3
	v_fma_f32 v5, -v9, v1, v7
	v_fma_f32 v6, v8, v1, -v3
	v_fma_f32 v1, -v0, v8, v10
	v_fmac_f32_e32 v2, v9, v0
	v_fmac_f32_e32 v5, v0, v8
	;; [unrolled: 1-line block ×3, first 2 shown]
	ds_write_b64 v64, v[1:2] offset:5376
	ds_write_b64 v4, v[5:6] offset:5824
.LBB0_21:
	s_or_b64 exec, exec, s[6:7]
	v_add_u32_e32 v18, 0x1000, v64
	s_waitcnt lgkmcnt(0)
	; wave barrier
	s_waitcnt lgkmcnt(0)
	s_waitcnt lgkmcnt(0)
	; wave barrier
	s_waitcnt lgkmcnt(0)
	ds_read2_b64 v[4:7], v64 offset1:56
	ds_read2_b64 v[8:11], v18 offset0:160 offset1:188
	v_add_u32_e32 v12, 0x1400, v64
	v_add_u32_e32 v14, 0x1c00, v64
	;; [unrolled: 1-line block ×3, first 2 shown]
	v_lshl_add_u32 v55, v54, 4, 0
	s_waitcnt lgkmcnt(0)
	v_sub_f32_e32 v50, v4, v10
	v_sub_f32_e32 v51, v5, v11
	v_fma_f32 v4, v4, 2.0, -v50
	v_fma_f32 v5, v5, 2.0, -v51
	v_add_u32_e32 v0, 0x1800, v64
	v_add_u32_e32 v3, 0x400, v64
	v_add_u32_e32 v1, 0x800, v64
	v_add_u32_e32 v2, 0x2000, v64
	ds_read2_b64 v[10:13], v12 offset0:116 offset1:172
	ds_read2_b64 v[14:17], v14 offset0:84 offset1:140
	ds_read2_b64 v[18:21], v18 offset0:48 offset1:104
	ds_read2_b64 v[22:25], v22 offset0:36 offset1:92
	ds_read2_b64 v[26:29], v64 offset0:112 offset1:168
	ds_read2_b64 v[30:33], v0 offset0:100 offset1:156
	ds_read2_b64 v[34:37], v3 offset0:96 offset1:152
	ds_read2_b64 v[38:41], v1 offset0:80 offset1:136
	ds_read2_b64 v[42:45], v2 offset0:68 offset1:124
	ds_read2_b64 v[46:49], v1 offset0:192 offset1:248
	ds_read2_b64 v[68:71], v2 offset0:180 offset1:236
	s_waitcnt lgkmcnt(0)
	; wave barrier
	s_waitcnt lgkmcnt(0)
	ds_write2_b64 v55, v[4:5], v[50:51] offset1:1
	v_sub_f32_e32 v4, v6, v10
	v_sub_f32_e32 v5, v7, v11
	v_add_u32_e32 v67, 56, v54
	v_fma_f32 v6, v6, 2.0, -v4
	v_fma_f32 v7, v7, 2.0, -v5
	v_lshl_add_u32 v10, v67, 4, 0
	ds_write2_b64 v10, v[6:7], v[4:5] offset1:1
	v_sub_f32_e32 v4, v26, v12
	v_sub_f32_e32 v5, v27, v13
	v_add_u32_e32 v66, 0x70, v54
	v_fma_f32 v6, v26, 2.0, -v4
	v_fma_f32 v7, v27, 2.0, -v5
	v_lshl_add_u32 v10, v66, 4, 0
	;; [unrolled: 7-line block ×7, first 2 shown]
	ds_write2_b64 v7, v[12:13], v[10:11] offset1:1
	v_sub_f32_e32 v10, v46, v44
	v_sub_f32_e32 v11, v47, v45
	v_or_b32_e32 v61, 0x1c0, v54
	v_fma_f32 v12, v46, 2.0, -v10
	v_fma_f32 v13, v47, 2.0, -v11
	v_lshl_add_u32 v7, v61, 4, 0
	ds_write2_b64 v7, v[12:13], v[10:11] offset1:1
	v_sub_f32_e32 v10, v48, v68
	v_sub_f32_e32 v11, v49, v69
	v_add_u32_e32 v63, 0x1f8, v54
	v_fma_f32 v12, v48, 2.0, -v10
	v_fma_f32 v13, v49, 2.0, -v11
	v_lshl_add_u32 v7, v63, 4, 0
	ds_write2_b64 v7, v[12:13], v[10:11] offset1:1
	v_sub_f32_e32 v10, v18, v70
	v_sub_f32_e32 v11, v19, v71
	v_add_u32_e32 v75, 0x230, v54
	;; [unrolled: 7-line block ×3, first 2 shown]
	v_sub_f32_e32 v50, v8, v24
	v_sub_f32_e32 v51, v9, v25
	v_fma_f32 v12, v20, 2.0, -v10
	v_fma_f32 v13, v21, 2.0, -v11
	v_lshl_add_u32 v7, v76, 4, 0
	v_fma_f32 v48, v8, 2.0, -v50
	v_fma_f32 v49, v9, 2.0, -v51
	v_add_u32_e32 v74, 0x2a0, v54
	ds_write2_b64 v7, v[12:13], v[10:11] offset1:1
	s_and_saveexec_b64 s[6:7], s[2:3]
	s_cbranch_execz .LBB0_23
; %bb.22:
	v_lshl_add_u32 v7, v74, 4, 0
	ds_write2_b64 v7, v[48:49], v[50:51] offset1:1
.LBB0_23:
	s_or_b64 exec, exec, s[6:7]
	v_add_u32_e32 v20, 0x1000, v64
	v_lshlrev_b32_e32 v60, 1, v4
	v_lshlrev_b32_e32 v59, 1, v5
	;; [unrolled: 1-line block ×3, first 2 shown]
	s_waitcnt lgkmcnt(0)
	; wave barrier
	s_waitcnt lgkmcnt(0)
	ds_read2_b64 v[12:15], v64 offset1:56
	ds_read2_b64 v[24:27], v20 offset0:188 offset1:244
	ds_read2_b64 v[28:31], v0 offset0:44 offset1:100
	;; [unrolled: 1-line block ×9, first 2 shown]
	v_add_u32_e32 v20, 0x2400, v64
	ds_read2_b64 v[44:47], v20 offset0:108 offset1:164
	ds_read2_b64 v[20:23], v64 offset0:112 offset1:168
	v_lshlrev_b32_e32 v73, 1, v54
	v_lshlrev_b32_e32 v72, 1, v67
	;; [unrolled: 1-line block ×9, first 2 shown]
	s_and_saveexec_b64 s[6:7], s[2:3]
	s_cbranch_execz .LBB0_25
; %bb.24:
	ds_read_b64 v[48:49], v64 offset:5376
	ds_read_b64 v[50:51], v64 offset:10976
.LBB0_25:
	s_or_b64 exec, exec, s[6:7]
	v_and_b32_e32 v75, 1, v54
	v_lshlrev_b32_e32 v76, 3, v75
	global_load_dwordx2 v[76:77], v76, s[12:13]
	s_movk_i32 s6, 0x7c
	s_waitcnt lgkmcnt(0)
	; wave barrier
	s_waitcnt lgkmcnt(0)
	s_movk_i32 s7, 0x2fc
	v_lshlrev_b32_e32 v74, 1, v74
	s_waitcnt vmcnt(0)
	v_mul_f32_e32 v78, v77, v25
	v_mul_f32_e32 v79, v77, v24
	;; [unrolled: 1-line block ×26, first 2 shown]
	v_fma_f32 v24, v76, v24, -v78
	v_fmac_f32_e32 v79, v76, v25
	v_fma_f32 v26, v76, v26, -v80
	v_fmac_f32_e32 v81, v76, v27
	;; [unrolled: 2-line block ×13, first 2 shown]
	v_sub_f32_e32 v24, v12, v24
	v_sub_f32_e32 v25, v13, v79
	v_and_or_b32 v76, v73, s6, v75
	v_fma_f32 v12, v12, 2.0, -v24
	v_fma_f32 v13, v13, 2.0, -v25
	v_lshl_add_u32 v76, v76, 3, 0
	s_movk_i32 s6, 0xfc
	v_sub_f32_e32 v26, v14, v26
	v_sub_f32_e32 v27, v15, v81
	ds_write2_b64 v76, v[12:13], v[24:25] offset1:2
	v_and_or_b32 v12, v72, s6, v75
	v_fma_f32 v14, v14, 2.0, -v26
	v_fma_f32 v15, v15, 2.0, -v27
	v_lshl_add_u32 v12, v12, 3, 0
	s_movk_i32 s6, 0x1fc
	v_sub_f32_e32 v28, v20, v28
	v_sub_f32_e32 v29, v21, v83
	ds_write2_b64 v12, v[14:15], v[26:27] offset1:2
	v_and_or_b32 v12, v70, s6, v75
	v_fma_f32 v20, v20, 2.0, -v28
	v_fma_f32 v21, v21, 2.0, -v29
	v_lshl_add_u32 v12, v12, 3, 0
	v_sub_f32_e32 v30, v22, v30
	v_sub_f32_e32 v31, v23, v85
	ds_write2_b64 v12, v[20:21], v[28:29] offset1:2
	v_and_or_b32 v12, v68, s6, v75
	v_fma_f32 v22, v22, 2.0, -v30
	v_fma_f32 v23, v23, 2.0, -v31
	v_lshl_add_u32 v12, v12, 3, 0
	s_movk_i32 s6, 0x3fc
	v_sub_f32_e32 v32, v16, v32
	v_sub_f32_e32 v33, v17, v87
	ds_write2_b64 v12, v[22:23], v[30:31] offset1:2
	v_and_or_b32 v12, v62, s6, v75
	v_fma_f32 v16, v16, 2.0, -v32
	v_fma_f32 v17, v17, 2.0, -v33
	v_lshl_add_u32 v12, v12, 3, 0
	v_sub_f32_e32 v34, v18, v34
	v_sub_f32_e32 v35, v19, v89
	ds_write2_b64 v12, v[16:17], v[32:33] offset1:2
	v_and_or_b32 v12, v60, s7, v75
	v_fma_f32 v18, v18, 2.0, -v34
	v_fma_f32 v19, v19, 2.0, -v35
	v_lshl_add_u32 v12, v12, 3, 0
	;; [unrolled: 7-line block ×5, first 2 shown]
	s_movk_i32 s6, 0x7fc
	v_sub_f32_e32 v42, v6, v42
	v_sub_f32_e32 v43, v7, v97
	ds_write2_b64 v8, v[4:5], v[40:41] offset1:2
	v_and_or_b32 v4, v69, s6, v75
	v_fma_f32 v6, v6, 2.0, -v42
	v_fma_f32 v7, v7, 2.0, -v43
	v_lshl_add_u32 v4, v4, 3, 0
	s_movk_i32 s6, 0x4fc
	v_sub_f32_e32 v44, v0, v44
	v_sub_f32_e32 v45, v1, v99
	ds_write2_b64 v4, v[6:7], v[42:43] offset1:2
	v_and_or_b32 v4, v63, s6, v75
	v_fma_f32 v0, v0, 2.0, -v44
	v_fma_f32 v1, v1, 2.0, -v45
	v_lshl_add_u32 v4, v4, 3, 0
	s_movk_i32 s6, 0x5fc
	v_sub_f32_e32 v46, v2, v46
	v_sub_f32_e32 v47, v3, v101
	;; [unrolled: 1-line block ×4, first 2 shown]
	ds_write2_b64 v4, v[0:1], v[44:45] offset1:2
	v_and_or_b32 v0, v61, s6, v75
	v_fma_f32 v2, v2, 2.0, -v46
	v_fma_f32 v3, v3, 2.0, -v47
	;; [unrolled: 1-line block ×4, first 2 shown]
	v_lshl_add_u32 v0, v0, 3, 0
	ds_write2_b64 v0, v[2:3], v[46:47] offset1:2
	s_and_saveexec_b64 s[6:7], s[2:3]
	s_cbranch_execz .LBB0_27
; %bb.26:
	s_movk_i32 s8, 0x57c
	v_and_or_b32 v0, v74, s8, v75
	v_lshl_add_u32 v0, v0, 3, 0
	ds_write2_b64 v0, v[48:49], v[50:51] offset1:2
.LBB0_27:
	s_or_b64 exec, exec, s[6:7]
	v_add_u32_e32 v0, 0x1000, v64
	v_add_u32_e32 v1, 0x1800, v64
	;; [unrolled: 1-line block ×3, first 2 shown]
	s_waitcnt lgkmcnt(0)
	; wave barrier
	s_waitcnt lgkmcnt(0)
	ds_read2_b64 v[12:15], v64 offset1:56
	ds_read2_b64 v[24:27], v0 offset0:188 offset1:244
	ds_read2_b64 v[16:19], v64 offset0:112 offset1:168
	;; [unrolled: 1-line block ×5, first 2 shown]
	v_add_u32_e32 v1, 0x800, v64
	v_add_u32_e32 v2, 0x2000, v64
	ds_read2_b64 v[8:11], v1 offset0:80 offset1:136
	ds_read2_b64 v[36:39], v2 offset0:12 offset1:68
	;; [unrolled: 1-line block ×5, first 2 shown]
	v_add_u32_e32 v44, 0x2400, v64
	ds_read2_b64 v[44:47], v44 offset0:108 offset1:164
	s_and_saveexec_b64 s[6:7], s[2:3]
	s_cbranch_execz .LBB0_29
; %bb.28:
	ds_read_b64 v[48:49], v64 offset:5376
	ds_read_b64 v[50:51], v64 offset:10976
.LBB0_29:
	s_or_b64 exec, exec, s[6:7]
	v_and_b32_e32 v75, 3, v54
	v_lshlrev_b32_e32 v76, 3, v75
	global_load_dwordx2 v[76:77], v76, s[12:13] offset:16
	s_movk_i32 s6, 0x78
	v_and_or_b32 v73, v73, s6, v75
	v_lshl_add_u32 v73, v73, 3, 0
	s_movk_i32 s6, 0xf8
	s_waitcnt lgkmcnt(0)
	; wave barrier
	s_waitcnt lgkmcnt(0)
	s_movk_i32 s7, 0x2f8
	s_waitcnt vmcnt(0)
	v_mul_f32_e32 v78, v77, v25
	v_mul_f32_e32 v79, v77, v24
	v_fma_f32 v24, v76, v24, -v78
	v_fmac_f32_e32 v79, v76, v25
	v_mul_f32_e32 v80, v77, v27
	v_mul_f32_e32 v81, v77, v26
	v_sub_f32_e32 v24, v12, v24
	v_sub_f32_e32 v25, v13, v79
	v_fma_f32 v26, v76, v26, -v80
	v_fmac_f32_e32 v81, v76, v27
	v_fma_f32 v12, v12, 2.0, -v24
	v_fma_f32 v13, v13, 2.0, -v25
	v_mul_f32_e32 v82, v77, v29
	v_mul_f32_e32 v83, v77, v28
	v_sub_f32_e32 v26, v14, v26
	v_sub_f32_e32 v27, v15, v81
	ds_write2_b64 v73, v[12:13], v[24:25] offset1:4
	v_and_or_b32 v12, v72, s6, v75
	v_fma_f32 v28, v76, v28, -v82
	v_fmac_f32_e32 v83, v76, v29
	v_fma_f32 v14, v14, 2.0, -v26
	v_fma_f32 v15, v15, 2.0, -v27
	v_lshl_add_u32 v12, v12, 3, 0
	s_movk_i32 s6, 0x1f8
	v_mul_f32_e32 v84, v77, v31
	v_mul_f32_e32 v85, v77, v30
	v_sub_f32_e32 v28, v16, v28
	v_sub_f32_e32 v29, v17, v83
	ds_write2_b64 v12, v[14:15], v[26:27] offset1:4
	v_and_or_b32 v12, v70, s6, v75
	v_fma_f32 v30, v76, v30, -v84
	v_fmac_f32_e32 v85, v76, v31
	v_fma_f32 v16, v16, 2.0, -v28
	v_fma_f32 v17, v17, 2.0, -v29
	v_lshl_add_u32 v12, v12, 3, 0
	v_mul_f32_e32 v86, v77, v33
	v_mul_f32_e32 v87, v77, v32
	v_sub_f32_e32 v30, v18, v30
	v_sub_f32_e32 v31, v19, v85
	ds_write2_b64 v12, v[16:17], v[28:29] offset1:4
	v_and_or_b32 v12, v68, s6, v75
	v_fma_f32 v32, v76, v32, -v86
	v_fmac_f32_e32 v87, v76, v33
	v_fma_f32 v18, v18, 2.0, -v30
	v_fma_f32 v19, v19, 2.0, -v31
	v_lshl_add_u32 v12, v12, 3, 0
	s_movk_i32 s6, 0x3f8
	v_mul_f32_e32 v88, v77, v35
	v_mul_f32_e32 v89, v77, v34
	v_sub_f32_e32 v32, v20, v32
	v_sub_f32_e32 v33, v21, v87
	ds_write2_b64 v12, v[18:19], v[30:31] offset1:4
	v_and_or_b32 v12, v62, s6, v75
	v_fma_f32 v34, v76, v34, -v88
	v_fmac_f32_e32 v89, v76, v35
	v_fma_f32 v20, v20, 2.0, -v32
	v_fma_f32 v21, v21, 2.0, -v33
	v_lshl_add_u32 v12, v12, 3, 0
	v_mul_f32_e32 v90, v77, v37
	v_mul_f32_e32 v91, v77, v36
	v_sub_f32_e32 v34, v22, v34
	v_sub_f32_e32 v35, v23, v89
	ds_write2_b64 v12, v[20:21], v[32:33] offset1:4
	v_and_or_b32 v12, v60, s7, v75
	v_fma_f32 v36, v76, v36, -v90
	v_fmac_f32_e32 v91, v76, v37
	v_fma_f32 v22, v22, 2.0, -v34
	v_fma_f32 v23, v23, 2.0, -v35
	v_lshl_add_u32 v12, v12, 3, 0
	;; [unrolled: 11-line block ×5, first 2 shown]
	s_movk_i32 s6, 0x7f8
	v_mul_f32_e32 v98, v77, v45
	v_mul_f32_e32 v99, v77, v44
	v_sub_f32_e32 v42, v6, v42
	v_sub_f32_e32 v43, v7, v97
	ds_write2_b64 v8, v[4:5], v[40:41] offset1:4
	v_and_or_b32 v4, v69, s6, v75
	v_fma_f32 v44, v76, v44, -v98
	v_fmac_f32_e32 v99, v76, v45
	v_fma_f32 v6, v6, 2.0, -v42
	v_fma_f32 v7, v7, 2.0, -v43
	v_lshl_add_u32 v4, v4, 3, 0
	s_movk_i32 s6, 0x4f8
	v_mul_f32_e32 v100, v77, v47
	v_mul_f32_e32 v101, v77, v46
	v_sub_f32_e32 v44, v0, v44
	v_sub_f32_e32 v45, v1, v99
	ds_write2_b64 v4, v[6:7], v[42:43] offset1:4
	v_and_or_b32 v4, v63, s6, v75
	v_mul_f32_e32 v102, v51, v77
	v_mul_f32_e32 v77, v50, v77
	v_fma_f32 v78, v76, v46, -v100
	v_fmac_f32_e32 v101, v76, v47
	v_fma_f32 v46, v0, 2.0, -v44
	v_fma_f32 v47, v1, 2.0, -v45
	v_lshl_add_u32 v4, v4, 3, 0
	s_movk_i32 s6, 0x5f8
	v_fma_f32 v80, v50, v76, -v102
	v_fmac_f32_e32 v77, v51, v76
	v_sub_f32_e32 v50, v2, v78
	v_sub_f32_e32 v51, v3, v101
	ds_write2_b64 v4, v[46:47], v[44:45] offset1:4
	v_and_or_b32 v4, v61, s6, v75
	v_fma_f32 v2, v2, 2.0, -v50
	v_fma_f32 v3, v3, 2.0, -v51
	v_sub_f32_e32 v0, v48, v80
	v_sub_f32_e32 v1, v49, v77
	v_lshl_add_u32 v4, v4, 3, 0
	ds_write2_b64 v4, v[2:3], v[50:51] offset1:4
	s_and_saveexec_b64 s[6:7], s[2:3]
	s_cbranch_execz .LBB0_31
; %bb.30:
	s_movk_i32 s2, 0x578
	v_and_or_b32 v2, v74, s2, v75
	v_lshl_add_u32 v4, v2, 3, 0
	v_fma_f32 v3, v49, 2.0, -v1
	v_fma_f32 v2, v48, 2.0, -v0
	ds_write2_b64 v4, v[2:3], v[0:1] offset1:4
.LBB0_31:
	s_or_b64 exec, exec, s[6:7]
	v_and_b32_e32 v18, 7, v54
	v_lshlrev_b32_e32 v2, 5, v18
	s_waitcnt lgkmcnt(0)
	; wave barrier
	s_waitcnt lgkmcnt(0)
	global_load_dwordx4 v[26:29], v2, s[12:13] offset:48
	global_load_dwordx4 v[30:33], v2, s[12:13] offset:64
	ds_read2_b64 v[14:17], v64 offset1:56
	v_add_u32_e32 v2, 0x400, v64
	v_add_u32_e32 v24, 0x1000, v64
	v_add_u32_e32 v20, 0x1800, v64
	v_add_u32_e32 v3, 0x2000, v64
	v_add_u32_e32 v25, 0x800, v64
	ds_read2_b64 v[10:13], v64 offset0:112 offset1:168
	v_add_u32_e32 v19, 0x2400, v64
	v_add_u32_e32 v21, 0x1c00, v64
	ds_read_b64 v[8:9], v64 offset:10752
	ds_read2_b64 v[4:7], v2 offset0:96 offset1:152
	ds_read2_b64 v[34:37], v24 offset0:48 offset1:104
	;; [unrolled: 1-line block ×10, first 2 shown]
	s_waitcnt lgkmcnt(0)
	; wave barrier
	s_waitcnt lgkmcnt(0)
	v_cmp_gt_u32_e32 vcc, 32, v54
	s_waitcnt vmcnt(1)
	v_mul_f32_e32 v23, v27, v6
	v_mul_f32_e32 v21, v29, v35
	;; [unrolled: 1-line block ×4, first 2 shown]
	v_fmac_f32_e32 v23, v26, v7
	v_fma_f32 v7, v28, v34, -v21
	s_waitcnt vmcnt(0)
	v_mul_f32_e32 v21, v75, v33
	v_mul_f32_e32 v62, v43, v33
	;; [unrolled: 1-line block ×6, first 2 shown]
	v_fmac_f32_e32 v103, v71, v28
	v_fma_f32 v71, v74, v32, -v21
	v_mul_f32_e32 v21, v79, v27
	v_mul_f32_e32 v50, v29, v34
	;; [unrolled: 1-line block ×4, first 2 shown]
	v_fma_f32 v34, v42, v32, -v62
	v_fma_f32 v42, v58, v30, -v88
	;; [unrolled: 1-line block ×3, first 2 shown]
	v_fmac_f32_e32 v99, v73, v32
	v_mul_f32_e32 v72, v74, v33
	v_fma_f32 v73, v78, v26, -v21
	v_mul_f32_e32 v21, v39, v29
	v_mul_f32_e32 v101, v76, v27
	v_fmac_f32_e32 v72, v75, v32
	v_fma_f32 v75, v38, v28, -v21
	v_mul_f32_e32 v21, v83, v31
	v_mul_f32_e32 v85, v46, v27
	;; [unrolled: 1-line block ×6, first 2 shown]
	v_fma_f32 v6, v26, v6, -v19
	v_fmac_f32_e32 v101, v77, v26
	v_mul_f32_e32 v74, v78, v27
	v_fma_f32 v77, v82, v30, -v21
	v_mul_f32_e32 v21, v9, v33
	v_mul_f32_e32 v22, v41, v31
	;; [unrolled: 1-line block ×3, first 2 shown]
	v_fmac_f32_e32 v85, v47, v26
	v_fma_f32 v47, v68, v28, -v94
	v_fmac_f32_e32 v95, v69, v28
	v_fma_f32 v68, v70, v28, -v102
	v_fma_f32 v69, v80, v30, -v104
	v_mul_f32_e32 v70, v80, v31
	v_fmac_f32_e32 v74, v79, v26
	v_fma_f32 v79, v8, v32, -v21
	v_mul_f32_e32 v80, v8, v33
	v_add_f32_e32 v8, v14, v6
	v_fma_f32 v19, v40, v30, -v22
	v_add_f32_e32 v8, v8, v7
	v_add_f32_e32 v8, v8, v19
	v_mul_f32_e32 v91, v44, v33
	v_mul_f32_e32 v92, v49, v27
	;; [unrolled: 1-line block ×4, first 2 shown]
	v_add_f32_e32 v21, v8, v34
	v_add_f32_e32 v8, v7, v19
	v_mul_f32_e32 v51, v40, v31
	v_mul_f32_e32 v86, v37, v29
	;; [unrolled: 1-line block ×5, first 2 shown]
	v_fmac_f32_e32 v63, v43, v32
	v_fma_f32 v40, v46, v26, -v84
	v_fmac_f32_e32 v91, v45, v32
	v_fma_f32 v45, v48, v26, -v92
	v_fmac_f32_e32 v93, v49, v26
	v_fmac_f32_e32 v97, v61, v30
	v_fma_f32 v61, v76, v26, -v100
	v_mul_f32_e32 v76, v38, v29
	v_fma_f32 v26, -0.5, v8, v14
	v_fmac_f32_e32 v50, v28, v35
	v_fmac_f32_e32 v51, v41, v30
	v_fma_f32 v41, v36, v28, -v86
	v_fmac_f32_e32 v87, v37, v28
	v_fmac_f32_e32 v76, v39, v28
	v_sub_f32_e32 v8, v23, v63
	v_mov_b32_e32 v28, v26
	v_fmac_f32_e32 v80, v9, v32
	v_fmac_f32_e32 v28, 0x3f737871, v8
	v_sub_f32_e32 v9, v50, v51
	v_sub_f32_e32 v22, v6, v7
	;; [unrolled: 1-line block ×3, first 2 shown]
	v_fmac_f32_e32 v26, 0xbf737871, v8
	v_fmac_f32_e32 v28, 0x3f167918, v9
	v_add_f32_e32 v22, v22, v27
	v_fmac_f32_e32 v26, 0xbf167918, v9
	v_fmac_f32_e32 v28, 0x3e9e377a, v22
	;; [unrolled: 1-line block ×3, first 2 shown]
	v_add_f32_e32 v22, v6, v34
	v_mul_f32_e32 v78, v82, v31
	v_fma_f32 v14, -0.5, v22, v14
	v_fmac_f32_e32 v89, v59, v30
	v_fma_f32 v49, v60, v30, -v96
	v_fmac_f32_e32 v70, v81, v30
	v_fmac_f32_e32 v78, v83, v30
	v_mov_b32_e32 v30, v14
	v_fmac_f32_e32 v30, 0xbf737871, v9
	v_fmac_f32_e32 v14, 0x3f737871, v9
	;; [unrolled: 1-line block ×4, first 2 shown]
	v_add_f32_e32 v8, v15, v23
	v_sub_f32_e32 v22, v7, v6
	v_sub_f32_e32 v27, v19, v34
	v_add_f32_e32 v8, v8, v50
	v_add_f32_e32 v22, v22, v27
	;; [unrolled: 1-line block ×3, first 2 shown]
	v_fmac_f32_e32 v30, 0x3e9e377a, v22
	v_fmac_f32_e32 v14, 0x3e9e377a, v22
	v_add_f32_e32 v22, v8, v63
	v_add_f32_e32 v8, v50, v51
	v_fma_f32 v27, -0.5, v8, v15
	v_sub_f32_e32 v6, v6, v34
	v_mov_b32_e32 v29, v27
	v_fmac_f32_e32 v29, 0xbf737871, v6
	v_sub_f32_e32 v7, v7, v19
	v_sub_f32_e32 v8, v23, v50
	;; [unrolled: 1-line block ×3, first 2 shown]
	v_fmac_f32_e32 v27, 0x3f737871, v6
	v_fmac_f32_e32 v29, 0xbf167918, v7
	v_add_f32_e32 v8, v8, v9
	v_fmac_f32_e32 v27, 0x3f167918, v7
	v_fmac_f32_e32 v29, 0x3e9e377a, v8
	;; [unrolled: 1-line block ×3, first 2 shown]
	v_add_f32_e32 v8, v23, v63
	v_fma_f32 v15, -0.5, v8, v15
	v_mov_b32_e32 v31, v15
	v_fmac_f32_e32 v31, 0x3f737871, v7
	v_fmac_f32_e32 v15, 0xbf737871, v7
	;; [unrolled: 1-line block ×4, first 2 shown]
	v_add_f32_e32 v6, v16, v40
	v_add_f32_e32 v6, v6, v41
	v_fma_f32 v37, v44, v32, -v90
	v_add_f32_e32 v6, v6, v42
	v_add_f32_e32 v32, v6, v37
	;; [unrolled: 1-line block ×3, first 2 shown]
	v_sub_f32_e32 v8, v50, v23
	v_sub_f32_e32 v9, v51, v63
	v_fma_f32 v34, -0.5, v6, v16
	v_add_f32_e32 v8, v8, v9
	v_sub_f32_e32 v6, v85, v91
	v_mov_b32_e32 v36, v34
	v_fmac_f32_e32 v31, 0x3e9e377a, v8
	v_fmac_f32_e32 v15, 0x3e9e377a, v8
	;; [unrolled: 1-line block ×3, first 2 shown]
	v_sub_f32_e32 v7, v87, v89
	v_sub_f32_e32 v8, v40, v41
	;; [unrolled: 1-line block ×3, first 2 shown]
	v_fmac_f32_e32 v34, 0xbf737871, v6
	v_fmac_f32_e32 v36, 0x3f167918, v7
	v_add_f32_e32 v8, v8, v9
	v_fmac_f32_e32 v34, 0xbf167918, v7
	v_fmac_f32_e32 v36, 0x3e9e377a, v8
	;; [unrolled: 1-line block ×3, first 2 shown]
	v_add_f32_e32 v8, v40, v37
	v_fma_f32 v16, -0.5, v8, v16
	v_mov_b32_e32 v38, v16
	v_fmac_f32_e32 v38, 0xbf737871, v7
	v_fmac_f32_e32 v16, 0x3f737871, v7
	;; [unrolled: 1-line block ×4, first 2 shown]
	v_add_f32_e32 v6, v17, v85
	v_add_f32_e32 v6, v6, v87
	;; [unrolled: 1-line block ×5, first 2 shown]
	v_sub_f32_e32 v8, v41, v40
	v_sub_f32_e32 v9, v42, v37
	v_fma_f32 v35, -0.5, v6, v17
	v_add_f32_e32 v8, v8, v9
	v_sub_f32_e32 v6, v40, v37
	v_mov_b32_e32 v37, v35
	v_fmac_f32_e32 v38, 0x3e9e377a, v8
	v_fmac_f32_e32 v16, 0x3e9e377a, v8
	;; [unrolled: 1-line block ×3, first 2 shown]
	v_sub_f32_e32 v7, v41, v42
	v_sub_f32_e32 v8, v85, v87
	;; [unrolled: 1-line block ×3, first 2 shown]
	v_fmac_f32_e32 v35, 0x3f737871, v6
	v_fmac_f32_e32 v37, 0xbf167918, v7
	v_add_f32_e32 v8, v8, v9
	v_fmac_f32_e32 v35, 0x3f167918, v7
	v_fmac_f32_e32 v37, 0x3e9e377a, v8
	;; [unrolled: 1-line block ×3, first 2 shown]
	v_add_f32_e32 v8, v85, v91
	v_fmac_f32_e32 v17, -0.5, v8
	v_mov_b32_e32 v39, v17
	v_fmac_f32_e32 v39, 0x3f737871, v7
	v_fmac_f32_e32 v17, 0xbf737871, v7
	v_fmac_f32_e32 v39, 0xbf167918, v6
	v_fmac_f32_e32 v17, 0x3f167918, v6
	v_add_f32_e32 v6, v10, v45
	v_add_f32_e32 v6, v6, v47
	v_add_f32_e32 v6, v6, v49
	v_add_f32_e32 v40, v6, v58
	v_add_f32_e32 v6, v47, v49
	v_sub_f32_e32 v8, v87, v85
	v_sub_f32_e32 v9, v89, v91
	v_fma_f32 v42, -0.5, v6, v10
	v_add_f32_e32 v8, v8, v9
	v_sub_f32_e32 v6, v93, v99
	v_mov_b32_e32 v44, v42
	v_fmac_f32_e32 v39, 0x3e9e377a, v8
	v_fmac_f32_e32 v17, 0x3e9e377a, v8
	v_fmac_f32_e32 v44, 0x3f737871, v6
	v_sub_f32_e32 v7, v95, v97
	v_sub_f32_e32 v8, v45, v47
	v_sub_f32_e32 v9, v58, v49
	v_fmac_f32_e32 v42, 0xbf737871, v6
	v_fmac_f32_e32 v44, 0x3f167918, v7
	v_add_f32_e32 v8, v8, v9
	v_fmac_f32_e32 v42, 0xbf167918, v7
	v_fmac_f32_e32 v44, 0x3e9e377a, v8
	v_fmac_f32_e32 v42, 0x3e9e377a, v8
	v_add_f32_e32 v8, v45, v58
	v_fma_f32 v46, -0.5, v8, v10
	v_mov_b32_e32 v48, v46
	v_fmac_f32_e32 v48, 0xbf737871, v7
	v_fmac_f32_e32 v46, 0x3f737871, v7
	v_fmac_f32_e32 v48, 0x3f167918, v6
	v_fmac_f32_e32 v46, 0xbf167918, v6
	v_add_f32_e32 v6, v11, v93
	v_add_f32_e32 v6, v6, v95
	v_add_f32_e32 v6, v6, v97
	v_add_f32_e32 v41, v6, v99
	v_add_f32_e32 v6, v95, v97
	v_sub_f32_e32 v8, v47, v45
	v_sub_f32_e32 v9, v49, v58
	v_fma_f32 v43, -0.5, v6, v11
	v_add_f32_e32 v8, v8, v9
	v_sub_f32_e32 v6, v45, v58
	v_mov_b32_e32 v45, v43
	v_fmac_f32_e32 v48, 0x3e9e377a, v8
	v_fmac_f32_e32 v46, 0x3e9e377a, v8
	v_fmac_f32_e32 v45, 0xbf737871, v6
	v_sub_f32_e32 v7, v47, v49
	v_sub_f32_e32 v8, v93, v95
	v_sub_f32_e32 v9, v99, v97
	v_fmac_f32_e32 v43, 0x3f737871, v6
	v_fmac_f32_e32 v45, 0xbf167918, v7
	v_add_f32_e32 v8, v8, v9
	v_fmac_f32_e32 v43, 0x3f167918, v7
	v_fmac_f32_e32 v45, 0x3e9e377a, v8
	v_fmac_f32_e32 v43, 0x3e9e377a, v8
	v_add_f32_e32 v8, v93, v99
	v_fma_f32 v47, -0.5, v8, v11
	v_mov_b32_e32 v49, v47
	v_fmac_f32_e32 v49, 0x3f737871, v7
	v_fmac_f32_e32 v47, 0xbf737871, v7
	v_fmac_f32_e32 v49, 0xbf167918, v6
	v_fmac_f32_e32 v47, 0x3f167918, v6
	v_add_f32_e32 v6, v12, v61
	v_add_f32_e32 v6, v6, v68
	v_add_f32_e32 v6, v6, v69
	v_add_f32_e32 v50, v6, v71
	v_add_f32_e32 v6, v68, v69
	v_sub_f32_e32 v8, v95, v93
	v_sub_f32_e32 v9, v97, v99
	v_fma_f32 v58, -0.5, v6, v12
	v_add_f32_e32 v8, v8, v9
	v_sub_f32_e32 v6, v101, v72
	v_mov_b32_e32 v60, v58
	v_fmac_f32_e32 v49, 0x3e9e377a, v8
	v_fmac_f32_e32 v47, 0x3e9e377a, v8
	v_fmac_f32_e32 v60, 0x3f737871, v6
	v_sub_f32_e32 v7, v103, v70
	v_sub_f32_e32 v8, v61, v68
	v_sub_f32_e32 v9, v71, v69
	v_fmac_f32_e32 v58, 0xbf737871, v6
	v_fmac_f32_e32 v60, 0x3f167918, v7
	v_add_f32_e32 v8, v8, v9
	v_fmac_f32_e32 v58, 0xbf167918, v7
	v_fmac_f32_e32 v60, 0x3e9e377a, v8
	v_fmac_f32_e32 v58, 0x3e9e377a, v8
	v_add_f32_e32 v8, v61, v71
	v_fma_f32 v12, -0.5, v8, v12
	v_mov_b32_e32 v62, v12
	v_fmac_f32_e32 v62, 0xbf737871, v7
	v_fmac_f32_e32 v12, 0x3f737871, v7
	;; [unrolled: 1-line block ×4, first 2 shown]
	v_add_f32_e32 v6, v13, v101
	v_add_f32_e32 v6, v6, v103
	;; [unrolled: 1-line block ×5, first 2 shown]
	v_sub_f32_e32 v8, v68, v61
	v_sub_f32_e32 v9, v69, v71
	v_fma_f32 v59, -0.5, v6, v13
	v_add_f32_e32 v8, v8, v9
	v_sub_f32_e32 v6, v61, v71
	v_mov_b32_e32 v61, v59
	v_fmac_f32_e32 v62, 0x3e9e377a, v8
	v_fmac_f32_e32 v12, 0x3e9e377a, v8
	;; [unrolled: 1-line block ×3, first 2 shown]
	v_sub_f32_e32 v7, v68, v69
	v_sub_f32_e32 v8, v101, v103
	;; [unrolled: 1-line block ×3, first 2 shown]
	v_fmac_f32_e32 v59, 0x3f737871, v6
	v_fmac_f32_e32 v61, 0xbf167918, v7
	v_add_f32_e32 v8, v8, v9
	v_fmac_f32_e32 v59, 0x3f167918, v7
	v_fmac_f32_e32 v61, 0x3e9e377a, v8
	;; [unrolled: 1-line block ×3, first 2 shown]
	v_add_f32_e32 v8, v101, v72
	v_fmac_f32_e32 v13, -0.5, v8
	v_mov_b32_e32 v63, v13
	v_fmac_f32_e32 v63, 0x3f737871, v7
	v_fmac_f32_e32 v13, 0xbf737871, v7
	v_fmac_f32_e32 v63, 0xbf167918, v6
	v_fmac_f32_e32 v13, 0x3f167918, v6
	v_add_f32_e32 v6, v4, v73
	v_add_f32_e32 v6, v6, v75
	;; [unrolled: 1-line block ×3, first 2 shown]
	v_sub_f32_e32 v8, v103, v101
	v_sub_f32_e32 v9, v70, v72
	v_add_f32_e32 v68, v6, v79
	v_add_f32_e32 v6, v75, v77
	;; [unrolled: 1-line block ×3, first 2 shown]
	v_fma_f32 v6, -0.5, v6, v4
	v_fmac_f32_e32 v63, 0x3e9e377a, v8
	v_fmac_f32_e32 v13, 0x3e9e377a, v8
	v_sub_f32_e32 v7, v74, v80
	v_mov_b32_e32 v8, v6
	v_fmac_f32_e32 v8, 0x3f737871, v7
	v_sub_f32_e32 v9, v76, v78
	v_sub_f32_e32 v10, v73, v75
	;; [unrolled: 1-line block ×3, first 2 shown]
	v_fmac_f32_e32 v6, 0xbf737871, v7
	v_fmac_f32_e32 v8, 0x3f167918, v9
	v_add_f32_e32 v10, v10, v11
	v_fmac_f32_e32 v6, 0xbf167918, v9
	v_fmac_f32_e32 v8, 0x3e9e377a, v10
	;; [unrolled: 1-line block ×3, first 2 shown]
	v_add_f32_e32 v10, v73, v79
	v_fma_f32 v4, -0.5, v10, v4
	v_mov_b32_e32 v10, v4
	v_fmac_f32_e32 v10, 0xbf737871, v9
	v_fmac_f32_e32 v4, 0x3f737871, v9
	;; [unrolled: 1-line block ×4, first 2 shown]
	v_add_f32_e32 v7, v5, v74
	v_add_f32_e32 v7, v7, v76
	;; [unrolled: 1-line block ×5, first 2 shown]
	v_sub_f32_e32 v11, v75, v73
	v_sub_f32_e32 v19, v77, v79
	v_fma_f32 v7, -0.5, v7, v5
	v_add_f32_e32 v11, v11, v19
	v_sub_f32_e32 v19, v73, v79
	v_mov_b32_e32 v9, v7
	v_fmac_f32_e32 v10, 0x3e9e377a, v11
	v_fmac_f32_e32 v4, 0x3e9e377a, v11
	;; [unrolled: 1-line block ×3, first 2 shown]
	v_sub_f32_e32 v23, v75, v77
	v_sub_f32_e32 v11, v74, v76
	;; [unrolled: 1-line block ×3, first 2 shown]
	v_fmac_f32_e32 v7, 0x3f737871, v19
	v_fmac_f32_e32 v9, 0xbf167918, v23
	v_add_f32_e32 v11, v11, v70
	v_fmac_f32_e32 v7, 0x3f167918, v23
	v_fmac_f32_e32 v9, 0x3e9e377a, v11
	;; [unrolled: 1-line block ×3, first 2 shown]
	v_add_f32_e32 v11, v74, v80
	v_fmac_f32_e32 v5, -0.5, v11
	v_mov_b32_e32 v11, v5
	v_fmac_f32_e32 v11, 0x3f737871, v23
	v_fmac_f32_e32 v5, 0xbf737871, v23
	;; [unrolled: 1-line block ×4, first 2 shown]
	v_lshrrev_b32_e32 v19, 3, v54
	v_mul_u32_u24_e32 v19, 40, v19
	v_or_b32_e32 v19, v19, v18
	v_lshl_add_u32 v19, v19, 3, 0
	ds_write2_b64 v19, v[21:22], v[28:29] offset1:8
	ds_write2_b64 v19, v[30:31], v[14:15] offset0:16 offset1:24
	ds_write_b64 v19, v[26:27] offset:256
	v_lshrrev_b32_e32 v14, 3, v67
	v_mul_u32_u24_e32 v14, 40, v14
	v_or_b32_e32 v14, v14, v18
	v_lshl_add_u32 v14, v14, 3, 0
	ds_write2_b64 v14, v[32:33], v[36:37] offset1:8
	ds_write2_b64 v14, v[38:39], v[16:17] offset0:16 offset1:24
	ds_write_b64 v14, v[34:35] offset:256
	;; [unrolled: 7-line block ×4, first 2 shown]
	v_lshrrev_b32_e32 v12, 3, v55
	v_mul_u32_u24_e32 v12, 40, v12
	v_sub_f32_e32 v70, v76, v74
	v_sub_f32_e32 v71, v78, v80
	v_or_b32_e32 v12, v12, v18
	v_add_f32_e32 v70, v70, v71
	v_lshl_add_u32 v12, v12, 3, 0
	v_fmac_f32_e32 v11, 0x3e9e377a, v70
	v_fmac_f32_e32 v5, 0x3e9e377a, v70
	ds_write2_b64 v12, v[68:69], v[8:9] offset1:8
	ds_write2_b64 v12, v[10:11], v[4:5] offset0:16 offset1:24
	ds_write_b64 v12, v[6:7] offset:256
	s_waitcnt lgkmcnt(0)
	; wave barrier
	s_waitcnt lgkmcnt(0)
	ds_read2_b64 v[16:19], v64 offset1:56
	ds_read2_b64 v[12:15], v64 offset0:112 offset1:200
	ds_read2_b64 v[36:39], v25 offset0:144 offset1:200
	ds_read2_b64 v[32:35], v24 offset1:88
	ds_read2_b64 v[40:43], v20 offset0:32 offset1:88
	ds_read2_b64 v[20:23], v20 offset0:144 offset1:232
	;; [unrolled: 1-line block ×3, first 2 shown]
	ds_read2_b64 v[44:47], v25 offset1:56
	ds_read2_b64 v[28:31], v24 offset0:144 offset1:200
	ds_read2_b64 v[24:27], v3 offset0:32 offset1:88
	ds_read_b64 v[62:63], v64 offset:10496
                                        ; implicit-def: $vgpr61
	s_and_saveexec_b64 s[2:3], vcc
	s_cbranch_execz .LBB0_33
; %bb.32:
	v_add_u32_e32 v0, 0x1100, v64
	ds_read2_b64 v[4:7], v0 offset0:24 offset1:224
	v_add_u32_e32 v0, 0x1e00, v64
	ds_read2_b64 v[8:11], v2 offset0:40 offset1:240
	ds_read2_b64 v[0:3], v0 offset0:8 offset1:208
	ds_read_b64 v[60:61], v64 offset:10944
.LBB0_33:
	s_or_b64 exec, exec, s[2:3]
	v_subrev_u32_e32 v58, 40, v54
	v_cmp_gt_u32_e64 s[2:3], 40, v54
	v_cndmask_b32_e64 v68, v58, v54, s[2:3]
	v_mul_i32_i24_e32 v58, 6, v68
	v_mov_b32_e32 v59, 0
	v_lshlrev_b64 v[69:70], 3, v[58:59]
	v_mov_b32_e32 v58, s13
	v_add_co_u32_e64 v69, s[2:3], s12, v69
	s_movk_i32 s6, 0xcd
	v_addc_co_u32_e64 v70, s[2:3], v58, v70, s[2:3]
	v_mul_lo_u16_sdwa v58, v67, s6 dst_sel:DWORD dst_unused:UNUSED_PAD src0_sel:BYTE_0 src1_sel:DWORD
	v_lshrrev_b16_e32 v58, 13, v58
	global_load_dwordx4 v[72:75], v[69:70], off offset:304
	global_load_dwordx4 v[76:79], v[69:70], off offset:320
	;; [unrolled: 1-line block ×3, first 2 shown]
	v_mul_lo_u16_e32 v69, 40, v58
	v_mov_b32_e32 v96, 6
	v_sub_u16_e32 v69, v67, v69
	v_mul_u32_u24_sdwa v70, v69, v96 dst_sel:DWORD dst_unused:UNUSED_PAD src0_sel:BYTE_0 src1_sel:DWORD
	v_lshlrev_b32_e32 v71, 3, v70
	v_mul_lo_u16_sdwa v70, v66, s6 dst_sel:DWORD dst_unused:UNUSED_PAD src0_sel:BYTE_0 src1_sel:DWORD
	v_lshrrev_b16_e32 v70, 13, v70
	v_mul_lo_u16_e32 v97, 40, v70
	global_load_dwordx4 v[84:87], v71, s[12:13] offset:304
	global_load_dwordx4 v[88:91], v71, s[12:13] offset:320
	;; [unrolled: 1-line block ×3, first 2 shown]
	v_sub_u16_e32 v71, v66, v97
	v_mul_u32_u24_sdwa v96, v71, v96 dst_sel:DWORD dst_unused:UNUSED_PAD src0_sel:BYTE_0 src1_sel:DWORD
	v_lshlrev_b32_e32 v108, 3, v96
	global_load_dwordx4 v[96:99], v108, s[12:13] offset:304
	global_load_dwordx4 v[100:103], v108, s[12:13] offset:320
	;; [unrolled: 1-line block ×3, first 2 shown]
	s_mov_b32 s7, 0x3f5ff5aa
	s_mov_b32 s8, 0x3f3bfb3b
	;; [unrolled: 1-line block ×4, first 2 shown]
	v_cmp_lt_u32_e64 s[2:3], 39, v54
	v_lshlrev_b32_e32 v68, 3, v68
	s_waitcnt lgkmcnt(0)
	; wave barrier
	s_waitcnt vmcnt(8) lgkmcnt(0)
	v_mul_f32_e32 v108, v73, v15
	v_mul_f32_e32 v73, v73, v14
	s_waitcnt vmcnt(6)
	v_mul_f32_e32 v112, v81, v23
	v_mul_f32_e32 v81, v81, v22
	;; [unrolled: 1-line block ×9, first 2 shown]
	v_fma_f32 v22, v80, v22, -v112
	v_fmac_f32_e32 v81, v80, v23
	v_fmac_f32_e32 v83, v82, v49
	s_waitcnt vmcnt(4)
	v_mul_f32_e32 v49, v42, v91
	s_waitcnt vmcnt(3)
	v_mul_f32_e32 v80, v25, v93
	v_mul_f32_e32 v75, v75, v36
	v_fmac_f32_e32 v73, v72, v15
	v_fma_f32 v15, v74, v36, -v109
	v_fmac_f32_e32 v77, v76, v35
	v_fma_f32 v35, v78, v40, -v111
	;; [unrolled: 2-line block ×3, first 2 shown]
	v_mul_f32_e32 v36, v87, v39
	v_mul_f32_e32 v40, v85, v45
	;; [unrolled: 1-line block ×5, first 2 shown]
	s_waitcnt vmcnt(2)
	v_mul_f32_e32 v85, v47, v97
	v_fmac_f32_e32 v49, v43, v90
	v_fma_f32 v43, v24, v92, -v80
	s_waitcnt vmcnt(1)
	v_mul_f32_e32 v24, v31, v101
	v_fmac_f32_e32 v75, v74, v37
	v_fma_f32 v34, v76, v34, -v110
	v_mul_f32_e32 v37, v87, v38
	v_mul_f32_e32 v76, v51, v95
	;; [unrolled: 1-line block ×3, first 2 shown]
	v_fma_f32 v36, v86, v38, -v36
	v_fma_f32 v38, v84, v44, -v40
	;; [unrolled: 1-line block ×4, first 2 shown]
	v_mul_f32_e32 v24, v21, v103
	v_mul_f32_e32 v78, v50, v95
	v_fmac_f32_e32 v37, v86, v39
	v_fma_f32 v39, v42, v90, -v48
	v_fma_f32 v42, v50, v94, -v76
	;; [unrolled: 1-line block ×3, first 2 shown]
	v_mul_f32_e32 v50, v20, v103
	s_waitcnt vmcnt(0)
	v_mul_f32_e32 v20, v27, v105
	v_fma_f32 v14, v72, v14, -v108
	v_fmac_f32_e32 v78, v51, v94
	v_fma_f32 v51, v26, v104, -v20
	v_mul_f32_e32 v20, v63, v107
	v_mul_f32_e32 v72, v29, v89
	v_fma_f32 v76, v62, v106, -v20
	v_add_f32_e32 v20, v14, v23
	v_add_f32_e32 v24, v15, v22
	v_mul_f32_e32 v74, v28, v89
	v_mul_f32_e32 v89, v33, v99
	v_fma_f32 v40, v28, v88, -v72
	v_fmac_f32_e32 v82, v25, v92
	v_fmac_f32_e32 v87, v47, v96
	v_mul_f32_e32 v47, v30, v101
	v_fmac_f32_e32 v50, v21, v102
	v_mul_f32_e32 v72, v26, v105
	v_add_f32_e32 v21, v73, v83
	v_add_f32_e32 v25, v75, v81
	v_sub_f32_e32 v15, v15, v22
	v_add_f32_e32 v26, v34, v35
	v_sub_f32_e32 v28, v35, v34
	v_add_f32_e32 v30, v24, v20
	v_mul_f32_e32 v91, v32, v99
	v_fmac_f32_e32 v41, v84, v45
	v_fmac_f32_e32 v74, v29, v88
	v_fma_f32 v45, v32, v98, -v89
	v_fmac_f32_e32 v47, v31, v100
	v_fmac_f32_e32 v72, v27, v104
	v_mul_f32_e32 v62, v62, v107
	v_sub_f32_e32 v14, v14, v23
	v_sub_f32_e32 v22, v75, v81
	v_add_f32_e32 v27, v77, v79
	v_sub_f32_e32 v29, v79, v77
	v_add_f32_e32 v31, v25, v21
	v_sub_f32_e32 v32, v24, v20
	v_sub_f32_e32 v20, v20, v26
	;; [unrolled: 1-line block ×3, first 2 shown]
	v_add_f32_e32 v34, v28, v15
	v_add_f32_e32 v26, v26, v30
	v_fmac_f32_e32 v91, v33, v98
	v_fmac_f32_e32 v62, v63, v106
	v_sub_f32_e32 v23, v73, v83
	v_sub_f32_e32 v33, v25, v21
	;; [unrolled: 1-line block ×8, first 2 shown]
	v_add_f32_e32 v27, v27, v31
	v_add_f32_e32 v30, v34, v14
	;; [unrolled: 1-line block ×4, first 2 shown]
	v_sub_f32_e32 v22, v22, v23
	v_add_f32_e32 v15, v17, v27
	v_mul_f32_e32 v34, 0xbf08b237, v73
	v_mov_b32_e32 v73, v14
	v_sub_f32_e32 v29, v23, v29
	v_add_f32_e32 v23, v35, v23
	v_mul_f32_e32 v16, 0x3f4a47b2, v20
	v_mul_f32_e32 v17, 0x3f4a47b2, v21
	v_mul_f32_e32 v20, 0x3d64c772, v24
	v_mul_f32_e32 v31, 0xbf08b237, v63
	v_mul_f32_e32 v35, 0x3f5ff5aa, v75
	v_mul_f32_e32 v63, 0x3f5ff5aa, v22
	v_fmac_f32_e32 v73, 0xbf955555, v26
	v_mov_b32_e32 v26, v15
	v_mul_f32_e32 v21, 0x3d64c772, v25
	v_fmac_f32_e32 v26, 0xbf955555, v27
	v_fma_f32 v20, v32, s8, -v20
	v_fma_f32 v27, v32, s9, -v16
	v_fmac_f32_e32 v16, 0x3d64c772, v24
	v_fma_f32 v24, v33, s9, -v17
	v_fmac_f32_e32 v17, 0x3d64c772, v25
	;; [unrolled: 2-line block ×4, first 2 shown]
	v_fma_f32 v28, v28, s14, -v35
	v_fma_f32 v29, v29, s14, -v63
	;; [unrolled: 1-line block ×3, first 2 shown]
	v_add_f32_e32 v33, v16, v73
	v_add_f32_e32 v63, v20, v73
	v_add_f32_e32 v27, v27, v73
	v_add_f32_e32 v73, v24, v26
	v_fmac_f32_e32 v34, 0x3ee1c552, v23
	v_fmac_f32_e32 v28, 0x3ee1c552, v30
	;; [unrolled: 1-line block ×3, first 2 shown]
	v_add_f32_e32 v35, v17, v26
	v_add_f32_e32 v75, v21, v26
	v_fmac_f32_e32 v31, 0x3ee1c552, v30
	v_fmac_f32_e32 v25, 0x3ee1c552, v30
	;; [unrolled: 1-line block ×3, first 2 shown]
	v_add_f32_e32 v16, v34, v33
	v_add_f32_e32 v20, v29, v27
	v_sub_f32_e32 v21, v73, v28
	v_sub_f32_e32 v26, v27, v29
	v_add_f32_e32 v27, v28, v73
	v_sub_f32_e32 v28, v33, v34
	v_add_f32_e32 v30, v38, v42
	v_add_f32_e32 v34, v36, v43
	v_sub_f32_e32 v17, v35, v31
	v_sub_f32_e32 v22, v63, v32
	v_add_f32_e32 v24, v32, v63
	v_add_f32_e32 v29, v31, v35
	;; [unrolled: 1-line block ×3, first 2 shown]
	v_sub_f32_e32 v32, v38, v42
	v_add_f32_e32 v35, v37, v82
	v_add_f32_e32 v38, v40, v39
	;; [unrolled: 1-line block ×3, first 2 shown]
	v_sub_f32_e32 v33, v41, v78
	v_sub_f32_e32 v36, v36, v43
	v_add_f32_e32 v41, v74, v49
	v_sub_f32_e32 v39, v39, v40
	v_sub_f32_e32 v40, v49, v74
	v_add_f32_e32 v43, v35, v31
	v_sub_f32_e32 v49, v34, v30
	v_sub_f32_e32 v30, v30, v38
	;; [unrolled: 1-line block ×3, first 2 shown]
	v_add_f32_e32 v38, v38, v42
	v_sub_f32_e32 v37, v37, v82
	v_sub_f32_e32 v63, v35, v31
	v_sub_f32_e32 v31, v31, v41
	v_sub_f32_e32 v35, v41, v35
	v_add_f32_e32 v41, v41, v43
	v_add_f32_e32 v18, v18, v38
	;; [unrolled: 1-line block ×3, first 2 shown]
	v_sub_f32_e32 v25, v75, v25
	v_add_f32_e32 v73, v39, v36
	v_add_f32_e32 v74, v40, v37
	v_sub_f32_e32 v75, v39, v36
	v_sub_f32_e32 v77, v40, v37
	;; [unrolled: 1-line block ×4, first 2 shown]
	v_add_f32_e32 v19, v19, v41
	v_mov_b32_e32 v78, v18
	v_sub_f32_e32 v39, v32, v39
	v_sub_f32_e32 v40, v33, v40
	v_add_f32_e32 v32, v73, v32
	v_add_f32_e32 v33, v74, v33
	v_mul_f32_e32 v30, 0x3f4a47b2, v30
	v_mul_f32_e32 v31, 0x3f4a47b2, v31
	;; [unrolled: 1-line block ×8, first 2 shown]
	v_fmac_f32_e32 v78, 0xbf955555, v38
	v_mov_b32_e32 v38, v19
	v_fmac_f32_e32 v38, 0xbf955555, v41
	v_fma_f32 v41, v49, s8, -v42
	v_fma_f32 v42, v63, s8, -v43
	;; [unrolled: 1-line block ×3, first 2 shown]
	v_fmac_f32_e32 v30, 0x3d64c772, v34
	v_fma_f32 v34, v63, s9, -v31
	v_fma_f32 v49, v36, s7, -v73
	v_fmac_f32_e32 v73, 0x3eae86e6, v39
	v_fma_f32 v36, v37, s7, -v74
	v_fmac_f32_e32 v74, 0x3eae86e6, v40
	v_fma_f32 v39, v39, s14, -v75
	v_fma_f32 v40, v40, s14, -v77
	v_fmac_f32_e32 v31, 0x3d64c772, v35
	v_add_f32_e32 v37, v41, v78
	v_add_f32_e32 v41, v42, v38
	;; [unrolled: 1-line block ×4, first 2 shown]
	v_fmac_f32_e32 v49, 0x3ee1c552, v32
	v_fmac_f32_e32 v36, 0x3ee1c552, v33
	;; [unrolled: 1-line block ×4, first 2 shown]
	v_add_f32_e32 v63, v30, v78
	v_add_f32_e32 v75, v31, v38
	v_fmac_f32_e32 v73, 0x3ee1c552, v32
	v_fmac_f32_e32 v74, 0x3ee1c552, v33
	v_add_f32_e32 v32, v40, v42
	v_sub_f32_e32 v33, v43, v39
	v_sub_f32_e32 v34, v37, v36
	v_add_f32_e32 v35, v49, v41
	v_add_f32_e32 v36, v36, v37
	v_sub_f32_e32 v37, v41, v49
	v_sub_f32_e32 v38, v42, v40
	v_add_f32_e32 v39, v39, v43
	v_add_f32_e32 v42, v44, v76
	v_add_f32_e32 v43, v87, v62
	v_sub_f32_e32 v49, v87, v62
	v_add_f32_e32 v62, v45, v51
	v_add_f32_e32 v30, v74, v63
	v_sub_f32_e32 v40, v63, v74
	v_add_f32_e32 v63, v91, v72
	v_sub_f32_e32 v45, v45, v51
	v_sub_f32_e32 v51, v91, v72
	v_add_f32_e32 v72, v46, v48
	v_sub_f32_e32 v46, v48, v46
	v_add_f32_e32 v48, v62, v42
	;; [unrolled: 2-line block ×3, first 2 shown]
	v_add_f32_e32 v73, v47, v50
	v_sub_f32_e32 v47, v50, v47
	v_add_f32_e32 v50, v63, v43
	v_add_f32_e32 v48, v72, v48
	;; [unrolled: 1-line block ×4, first 2 shown]
	v_sub_f32_e32 v44, v44, v76
	v_sub_f32_e32 v74, v62, v42
	;; [unrolled: 1-line block ×7, first 2 shown]
	v_add_f32_e32 v76, v46, v45
	v_sub_f32_e32 v78, v46, v45
	v_add_f32_e32 v13, v13, v50
	v_mov_b32_e32 v80, v12
	v_add_f32_e32 v77, v47, v51
	v_sub_f32_e32 v79, v47, v51
	v_sub_f32_e32 v46, v44, v46
	v_sub_f32_e32 v45, v45, v44
	v_sub_f32_e32 v51, v51, v49
	v_add_f32_e32 v44, v76, v44
	v_mul_f32_e32 v42, 0x3f4a47b2, v42
	v_mul_f32_e32 v43, 0x3f4a47b2, v43
	;; [unrolled: 1-line block ×5, first 2 shown]
	v_fmac_f32_e32 v80, 0xbf955555, v48
	v_mov_b32_e32 v48, v13
	v_sub_f32_e32 v47, v49, v47
	v_add_f32_e32 v49, v77, v49
	v_mul_f32_e32 v77, 0xbf08b237, v79
	v_mul_f32_e32 v79, 0x3f5ff5aa, v51
	v_fmac_f32_e32 v48, 0xbf955555, v50
	v_fma_f32 v50, v74, s8, -v72
	v_fma_f32 v72, v75, s8, -v73
	;; [unrolled: 1-line block ×3, first 2 shown]
	v_fmac_f32_e32 v42, 0x3d64c772, v62
	v_fma_f32 v62, v75, s9, -v43
	v_fmac_f32_e32 v43, 0x3d64c772, v63
	v_fma_f32 v63, v45, s7, -v76
	v_fma_f32 v51, v51, s7, -v77
	v_fmac_f32_e32 v77, 0x3eae86e6, v47
	v_fma_f32 v75, v47, s14, -v79
	v_add_f32_e32 v72, v72, v48
	v_fmac_f32_e32 v63, 0x3ee1c552, v44
	v_fmac_f32_e32 v77, 0x3ee1c552, v49
	;; [unrolled: 1-line block ×4, first 2 shown]
	v_add_f32_e32 v47, v63, v72
	v_sub_f32_e32 v49, v72, v63
	v_mov_b32_e32 v72, 0x8c0
	v_cndmask_b32_e64 v72, 0, v72, s[2:3]
	v_add3_u32 v68, 0, v72, v68
	ds_write2_b64 v68, v[14:15], v[16:17] offset1:40
	ds_write2_b64 v68, v[20:21], v[22:23] offset0:80 offset1:120
	ds_write2_b64 v68, v[24:25], v[26:27] offset0:160 offset1:200
	ds_write_b64 v68, v[28:29] offset:1920
	v_mov_b32_e32 v15, 3
	v_mul_u32_u24_e32 v14, 0x8c0, v58
	v_lshlrev_b32_sdwa v16, v15, v69 dst_sel:DWORD dst_unused:UNUSED_PAD src0_sel:DWORD src1_sel:BYTE_0
	v_mul_f32_e32 v78, 0x3f5ff5aa, v45
	v_fmac_f32_e32 v76, 0x3eae86e6, v46
	v_add3_u32 v14, 0, v14, v16
	v_fma_f32 v74, v46, s14, -v78
	v_add_f32_e32 v78, v42, v80
	v_add_f32_e32 v79, v43, v48
	v_fmac_f32_e32 v76, 0x3ee1c552, v44
	ds_write2_b64 v14, v[18:19], v[30:31] offset1:40
	ds_write2_b64 v14, v[32:33], v[34:35] offset0:80 offset1:120
	ds_write2_b64 v14, v[36:37], v[38:39] offset0:160 offset1:200
	ds_write_b64 v14, v[40:41] offset:1920
	v_mul_u32_u24_e32 v14, 0x8c0, v70
	v_lshlrev_b32_sdwa v15, v15, v71 dst_sel:DWORD dst_unused:UNUSED_PAD src0_sel:DWORD src1_sel:BYTE_0
	v_add_f32_e32 v50, v50, v80
	v_add_f32_e32 v73, v73, v80
	;; [unrolled: 1-line block ×3, first 2 shown]
	v_fmac_f32_e32 v74, 0x3ee1c552, v44
	v_add_f32_e32 v42, v77, v78
	v_sub_f32_e32 v43, v79, v76
	v_add3_u32 v14, 0, v14, v15
	v_add_f32_e32 v44, v75, v73
	v_sub_f32_e32 v45, v62, v74
	v_sub_f32_e32 v46, v50, v51
	v_add_f32_e32 v48, v51, v50
	v_sub_f32_e32 v50, v73, v75
	v_add_f32_e32 v51, v74, v62
	;; [unrolled: 2-line block ×3, first 2 shown]
	ds_write2_b64 v14, v[12:13], v[42:43] offset1:40
	ds_write2_b64 v14, v[44:45], v[46:47] offset0:80 offset1:120
	ds_write2_b64 v14, v[48:49], v[50:51] offset0:160 offset1:200
	ds_write_b64 v14, v[62:63] offset:1920
	s_and_saveexec_b64 s[2:3], vcc
	s_cbranch_execz .LBB0_35
; %bb.34:
	v_mul_lo_u16_sdwa v12, v65, s6 dst_sel:DWORD dst_unused:UNUSED_PAD src0_sel:BYTE_0 src1_sel:DWORD
	v_lshrrev_b16_e32 v12, 13, v12
	v_mul_lo_u16_e32 v12, 40, v12
	v_sub_u16_e32 v12, v65, v12
	v_and_b32_e32 v24, 0xff, v12
	v_mul_u32_u24_e32 v12, 6, v24
	v_lshlrev_b32_e32 v25, 3, v12
	global_load_dwordx4 v[12:15], v25, s[12:13] offset:304
	global_load_dwordx4 v[16:19], v25, s[12:13] offset:336
	;; [unrolled: 1-line block ×3, first 2 shown]
	s_waitcnt vmcnt(2)
	v_mul_f32_e32 v25, v11, v13
	s_waitcnt vmcnt(1)
	v_mul_f32_e32 v26, v61, v19
	;; [unrolled: 2-line block ×3, first 2 shown]
	v_mul_f32_e32 v28, v7, v21
	v_mul_f32_e32 v29, v5, v15
	;; [unrolled: 1-line block ×9, first 2 shown]
	v_fma_f32 v10, v10, v12, -v25
	v_fma_f32 v25, v60, v18, -v26
	;; [unrolled: 1-line block ×6, first 2 shown]
	v_fmac_f32_e32 v19, v61, v18
	v_fmac_f32_e32 v13, v11, v12
	;; [unrolled: 1-line block ×6, first 2 shown]
	v_sub_f32_e32 v1, v10, v25
	v_sub_f32_e32 v3, v0, v6
	;; [unrolled: 1-line block ×3, first 2 shown]
	v_add_f32_e32 v10, v10, v25
	v_add_f32_e32 v2, v4, v2
	v_add_f32_e32 v7, v13, v19
	v_add_f32_e32 v11, v21, v23
	v_add_f32_e32 v12, v15, v17
	v_add_f32_e32 v0, v6, v0
	v_sub_f32_e32 v4, v13, v19
	v_sub_f32_e32 v6, v23, v21
	;; [unrolled: 1-line block ×4, first 2 shown]
	v_add_f32_e32 v21, v2, v10
	v_sub_f32_e32 v14, v1, v3
	v_add_f32_e32 v3, v3, v5
	v_sub_f32_e32 v16, v7, v11
	v_sub_f32_e32 v17, v11, v12
	v_add_f32_e32 v18, v12, v7
	v_sub_f32_e32 v19, v10, v0
	v_sub_f32_e32 v23, v6, v13
	v_sub_f32_e32 v25, v5, v1
	v_sub_f32_e32 v7, v12, v7
	v_mul_f32_e32 v12, 0xbf08b237, v15
	v_add_f32_e32 v5, v0, v21
	v_sub_f32_e32 v20, v0, v2
	v_add_f32_e32 v15, v3, v1
	v_add_f32_e32 v3, v11, v18
	v_mul_f32_e32 v11, 0x3f4a47b2, v19
	v_mul_f32_e32 v19, 0xbf08b237, v23
	;; [unrolled: 1-line block ×3, first 2 shown]
	v_mov_b32_e32 v23, v12
	v_add_f32_e32 v0, v8, v5
	v_add_f32_e32 v1, v9, v3
	v_mov_b32_e32 v9, v11
	v_fma_f32 v21, v14, s14, -v21
	v_fmac_f32_e32 v23, 0x3eae86e6, v14
	v_mov_b32_e32 v14, v0
	v_sub_f32_e32 v10, v2, v10
	v_fmac_f32_e32 v9, 0x3d64c772, v20
	v_fmac_f32_e32 v14, 0xbf955555, v5
	v_mul_f32_e32 v18, 0x3d64c772, v20
	v_add_f32_e32 v20, v9, v14
	v_fma_f32 v9, v10, s9, -v11
	v_sub_f32_e32 v22, v4, v6
	v_add_f32_e32 v6, v6, v13
	v_add_f32_e32 v28, v9, v14
	v_sub_f32_e32 v9, v13, v4
	v_mul_f32_e32 v2, 0x3f4a47b2, v16
	v_add_f32_e32 v6, v6, v4
	v_mov_b32_e32 v27, v19
	v_mul_f32_e32 v4, 0x3f5ff5aa, v9
	v_mul_f32_e32 v16, 0x3d64c772, v17
	v_mov_b32_e32 v26, v2
	v_mov_b32_e32 v8, v1
	v_fmac_f32_e32 v27, 0x3eae86e6, v22
	v_fma_f32 v13, v22, s14, -v4
	v_fma_f32 v11, v25, s7, -v12
	;; [unrolled: 1-line block ×4, first 2 shown]
	v_fmac_f32_e32 v26, 0x3d64c772, v17
	v_fmac_f32_e32 v8, 0xbf955555, v3
	;; [unrolled: 1-line block ×4, first 2 shown]
	v_fma_f32 v7, v7, s8, -v16
	v_fmac_f32_e32 v12, 0x3ee1c552, v6
	v_fma_f32 v6, v10, s8, -v18
	v_fmac_f32_e32 v23, 0x3ee1c552, v15
	v_add_f32_e32 v17, v26, v8
	v_add_f32_e32 v26, v2, v8
	v_add_f32_e32 v8, v7, v8
	v_fmac_f32_e32 v11, 0x3ee1c552, v15
	v_add_f32_e32 v10, v6, v14
	v_lshl_add_u32 v14, v24, 3, 0
	v_fmac_f32_e32 v21, 0x3ee1c552, v15
	v_sub_f32_e32 v4, v28, v13
	v_sub_f32_e32 v7, v8, v11
	v_add_f32_e32 v6, v12, v10
	v_add_f32_e32 v9, v11, v8
	v_sub_f32_e32 v8, v10, v12
	v_add_f32_e32 v10, v13, v28
	v_sub_f32_e32 v13, v17, v23
	v_add_f32_e32 v12, v27, v20
	v_add_u32_e32 v15, 0x2000, v14
	v_add_f32_e32 v5, v21, v26
	v_sub_f32_e32 v11, v26, v21
	ds_write2_b64 v15, v[0:1], v[12:13] offset0:96 offset1:136
	ds_write2_b64 v15, v[10:11], v[8:9] offset0:176 offset1:216
	v_add_u32_e32 v0, 0x2800, v14
	v_add_f32_e32 v3, v23, v17
	v_sub_f32_e32 v2, v20, v27
	ds_write2_b64 v0, v[6:7], v[4:5] offset1:40
	ds_write_b64 v14, v[2:3] offset:10880
.LBB0_35:
	s_or_b64 exec, exec, s[2:3]
	v_lshlrev_b32_e32 v58, 2, v54
	v_lshlrev_b64 v[0:1], 3, v[58:59]
	v_mov_b32_e32 v6, s13
	v_add_co_u32_e32 v0, vcc, s12, v0
	v_addc_co_u32_e32 v1, vcc, v6, v1, vcc
	v_lshlrev_b32_e32 v58, 2, v67
	s_waitcnt lgkmcnt(0)
	; wave barrier
	s_waitcnt lgkmcnt(0)
	global_load_dwordx4 v[19:22], v[0:1], off offset:2224
	global_load_dwordx4 v[23:26], v[0:1], off offset:2240
	v_lshlrev_b64 v[0:1], 3, v[58:59]
	v_lshlrev_b32_e32 v58, 2, v66
	v_add_co_u32_e32 v0, vcc, s12, v0
	v_addc_co_u32_e32 v1, vcc, v6, v1, vcc
	global_load_dwordx4 v[27:30], v[0:1], off offset:2224
	global_load_dwordx4 v[31:34], v[0:1], off offset:2240
	v_lshlrev_b64 v[0:1], 3, v[58:59]
	v_lshlrev_b32_e32 v58, 2, v65
	v_add_co_u32_e32 v0, vcc, s12, v0
	v_addc_co_u32_e32 v1, vcc, v6, v1, vcc
	;; [unrolled: 6-line block ×3, first 2 shown]
	v_lshlrev_b64 v[4:5], 3, v[58:59]
	global_load_dwordx4 v[43:46], v[0:1], off offset:2224
	global_load_dwordx4 v[47:50], v[0:1], off offset:2240
	v_add_co_u32_e32 v4, vcc, s12, v4
	v_addc_co_u32_e32 v5, vcc, v6, v5, vcc
	ds_read2_b64 v[0:3], v64 offset1:56
	global_load_dwordx4 v[58:61], v[4:5], off offset:2240
	global_load_dwordx4 v[65:68], v[4:5], off offset:2224
	v_add_u32_e32 v13, 0x400, v64
	v_add_u32_e32 v14, 0x1000, v64
	;; [unrolled: 1-line block ×5, first 2 shown]
	ds_read2_b64 v[4:7], v64 offset0:112 offset1:168
	v_add_u32_e32 v18, 0x2400, v64
	v_add_u32_e32 v15, 0x1c00, v64
	ds_read_b64 v[62:63], v64 offset:10752
	ds_read2_b64 v[8:11], v13 offset0:96 offset1:152
	ds_read2_b64 v[69:72], v14 offset0:48 offset1:104
	;; [unrolled: 1-line block ×10, first 2 shown]
	s_waitcnt lgkmcnt(0)
	; wave barrier
	s_waitcnt vmcnt(9) lgkmcnt(0)
	v_mul_f32_e32 v51, v20, v11
	v_mul_f32_e32 v55, v20, v10
	s_waitcnt vmcnt(8)
	v_mul_f32_e32 v106, v24, v75
	v_fma_f32 v51, v19, v10, -v51
	v_mul_f32_e32 v20, v22, v70
	v_mul_f32_e32 v105, v22, v69
	;; [unrolled: 1-line block ×3, first 2 shown]
	s_waitcnt vmcnt(7)
	v_mul_f32_e32 v10, v82, v28
	v_fmac_f32_e32 v55, v19, v11
	v_fmac_f32_e32 v106, v23, v76
	v_mul_f32_e32 v11, v72, v30
	v_mul_f32_e32 v76, v71, v30
	v_fma_f32 v30, v81, v27, -v10
	s_waitcnt vmcnt(6)
	v_mul_f32_e32 v10, v86, v32
	v_mul_f32_e32 v24, v78, v26
	v_fmac_f32_e32 v76, v72, v29
	v_fma_f32 v72, v85, v31, -v10
	v_mul_f32_e32 v10, v80, v34
	v_mul_f32_e32 v26, v77, v26
	v_fmac_f32_e32 v105, v21, v70
	v_fma_f32 v70, v23, v75, -v22
	v_fma_f32 v22, v77, v25, -v24
	v_mul_f32_e32 v77, v85, v32
	v_fma_f32 v32, v79, v33, -v10
	s_waitcnt vmcnt(5)
	v_mul_f32_e32 v10, v84, v36
	v_fmac_f32_e32 v26, v78, v25
	v_mul_f32_e32 v34, v79, v34
	v_fma_f32 v78, v83, v35, -v10
	v_mul_f32_e32 v10, v90, v38
	v_mul_f32_e32 v75, v81, v28
	v_fmac_f32_e32 v34, v80, v33
	v_fma_f32 v80, v89, v37, -v10
	s_waitcnt vmcnt(4)
	v_mul_f32_e32 v10, v88, v40
	v_fmac_f32_e32 v75, v82, v27
	v_fma_f32 v82, v87, v39, -v10
	v_mul_f32_e32 v10, v94, v42
	v_mul_f32_e32 v79, v83, v36
	;; [unrolled: 1-line block ×3, first 2 shown]
	v_fma_f32 v38, v93, v41, -v10
	s_waitcnt vmcnt(3)
	v_mul_f32_e32 v10, v98, v44
	v_fma_f32 v69, v21, v69, -v20
	v_fmac_f32_e32 v79, v84, v35
	v_fma_f32 v84, v97, v43, -v10
	v_mul_f32_e32 v10, v92, v46
	v_fma_f32 v71, v71, v29, -v11
	v_fmac_f32_e32 v77, v86, v31
	v_mul_f32_e32 v83, v87, v40
	v_fma_f32 v86, v91, v45, -v10
	s_waitcnt vmcnt(2)
	v_mul_f32_e32 v10, v102, v48
	v_add_f32_e32 v11, v69, v70
	v_fmac_f32_e32 v83, v88, v39
	v_fma_f32 v88, v101, v47, -v10
	v_mul_f32_e32 v10, v96, v50
	v_fma_f32 v19, -0.5, v11, v0
	v_mul_f32_e32 v87, v91, v46
	v_fma_f32 v46, v95, v49, -v10
	s_waitcnt vmcnt(0)
	v_mul_f32_e32 v10, v100, v66
	v_sub_f32_e32 v11, v55, v26
	v_mov_b32_e32 v21, v19
	v_fmac_f32_e32 v81, v90, v37
	v_fma_f32 v90, v99, v65, -v10
	v_mul_f32_e32 v66, v99, v66
	v_mul_f32_e32 v10, v74, v68
	v_fmac_f32_e32 v21, 0x3f737871, v11
	v_sub_f32_e32 v20, v105, v106
	v_sub_f32_e32 v23, v51, v69
	;; [unrolled: 1-line block ×3, first 2 shown]
	v_fmac_f32_e32 v19, 0xbf737871, v11
	v_fmac_f32_e32 v66, v100, v65
	v_fma_f32 v65, v73, v67, -v10
	v_mul_f32_e32 v68, v73, v68
	v_mul_f32_e32 v10, v104, v59
	v_fmac_f32_e32 v21, 0x3f167918, v20
	v_add_f32_e32 v23, v23, v24
	v_fmac_f32_e32 v19, 0xbf167918, v20
	v_fmac_f32_e32 v68, v74, v67
	v_fma_f32 v67, v103, v58, -v10
	v_mul_f32_e32 v10, v63, v61
	v_fmac_f32_e32 v21, 0x3e9e377a, v23
	v_fmac_f32_e32 v19, 0x3e9e377a, v23
	v_add_f32_e32 v23, v51, v22
	v_fma_f32 v74, v62, v60, -v10
	v_add_f32_e32 v10, v0, v51
	v_fma_f32 v0, -0.5, v23, v0
	v_mov_b32_e32 v23, v0
	v_add_f32_e32 v10, v10, v69
	v_fmac_f32_e32 v23, 0xbf737871, v20
	v_fmac_f32_e32 v0, 0x3f737871, v20
	v_add_f32_e32 v20, v105, v106
	v_add_f32_e32 v10, v10, v70
	v_sub_f32_e32 v24, v69, v51
	v_sub_f32_e32 v25, v70, v22
	v_fma_f32 v20, -0.5, v20, v1
	v_add_f32_e32 v10, v10, v22
	v_fmac_f32_e32 v23, 0x3f167918, v11
	v_add_f32_e32 v24, v24, v25
	v_fmac_f32_e32 v0, 0xbf167918, v11
	v_sub_f32_e32 v25, v51, v22
	v_mov_b32_e32 v22, v20
	v_fmac_f32_e32 v23, 0x3e9e377a, v24
	v_fmac_f32_e32 v0, 0x3e9e377a, v24
	;; [unrolled: 1-line block ×3, first 2 shown]
	v_sub_f32_e32 v27, v69, v70
	v_sub_f32_e32 v24, v55, v105
	;; [unrolled: 1-line block ×3, first 2 shown]
	v_fmac_f32_e32 v20, 0x3f737871, v25
	v_fmac_f32_e32 v22, 0xbf167918, v27
	v_add_f32_e32 v24, v24, v28
	v_fmac_f32_e32 v20, 0x3f167918, v27
	v_add_f32_e32 v11, v1, v55
	v_fmac_f32_e32 v22, 0x3e9e377a, v24
	v_fmac_f32_e32 v20, 0x3e9e377a, v24
	v_add_f32_e32 v24, v55, v26
	v_add_f32_e32 v11, v11, v105
	v_fma_f32 v1, -0.5, v24, v1
	v_add_f32_e32 v11, v11, v106
	v_mov_b32_e32 v24, v1
	v_add_f32_e32 v11, v11, v26
	v_fmac_f32_e32 v24, 0x3f737871, v27
	v_sub_f32_e32 v28, v105, v55
	v_sub_f32_e32 v26, v106, v26
	v_fmac_f32_e32 v1, 0xbf737871, v27
	v_fmac_f32_e32 v24, 0xbf167918, v25
	v_add_f32_e32 v26, v28, v26
	v_fmac_f32_e32 v1, 0x3f167918, v25
	v_fmac_f32_e32 v24, 0x3e9e377a, v26
	;; [unrolled: 1-line block ×3, first 2 shown]
	v_add_f32_e32 v26, v71, v72
	v_fma_f32 v27, -0.5, v26, v2
	v_sub_f32_e32 v26, v75, v34
	v_mov_b32_e32 v29, v27
	v_fmac_f32_e32 v29, 0x3f737871, v26
	v_sub_f32_e32 v28, v76, v77
	v_sub_f32_e32 v31, v30, v71
	;; [unrolled: 1-line block ×3, first 2 shown]
	v_fmac_f32_e32 v27, 0xbf737871, v26
	v_fmac_f32_e32 v29, 0x3f167918, v28
	v_add_f32_e32 v31, v31, v33
	v_fmac_f32_e32 v27, 0xbf167918, v28
	v_fmac_f32_e32 v29, 0x3e9e377a, v31
	;; [unrolled: 1-line block ×3, first 2 shown]
	v_add_f32_e32 v31, v30, v32
	v_add_f32_e32 v25, v2, v30
	v_fma_f32 v2, -0.5, v31, v2
	v_mov_b32_e32 v31, v2
	v_fmac_f32_e32 v31, 0xbf737871, v28
	v_sub_f32_e32 v33, v71, v30
	v_sub_f32_e32 v35, v72, v32
	v_fmac_f32_e32 v2, 0x3f737871, v28
	v_add_f32_e32 v28, v76, v77
	v_add_f32_e32 v25, v25, v71
	v_fmac_f32_e32 v31, 0x3f167918, v26
	v_add_f32_e32 v33, v33, v35
	v_fmac_f32_e32 v2, 0xbf167918, v26
	v_fma_f32 v28, -0.5, v28, v3
	v_add_f32_e32 v25, v25, v72
	v_fmac_f32_e32 v31, 0x3e9e377a, v33
	v_fmac_f32_e32 v2, 0x3e9e377a, v33
	v_sub_f32_e32 v33, v30, v32
	v_mov_b32_e32 v30, v28
	v_add_f32_e32 v25, v25, v32
	v_fmac_f32_e32 v30, 0xbf737871, v33
	v_sub_f32_e32 v35, v71, v72
	v_sub_f32_e32 v32, v75, v76
	;; [unrolled: 1-line block ×3, first 2 shown]
	v_fmac_f32_e32 v28, 0x3f737871, v33
	v_fmac_f32_e32 v30, 0xbf167918, v35
	v_add_f32_e32 v32, v32, v36
	v_fmac_f32_e32 v28, 0x3f167918, v35
	v_add_f32_e32 v26, v3, v75
	v_fmac_f32_e32 v30, 0x3e9e377a, v32
	v_fmac_f32_e32 v28, 0x3e9e377a, v32
	v_add_f32_e32 v32, v75, v34
	v_add_f32_e32 v26, v26, v76
	v_fmac_f32_e32 v3, -0.5, v32
	v_add_f32_e32 v26, v26, v77
	v_mov_b32_e32 v32, v3
	v_add_f32_e32 v26, v26, v34
	v_fmac_f32_e32 v32, 0x3f737871, v35
	v_sub_f32_e32 v36, v76, v75
	v_sub_f32_e32 v34, v77, v34
	v_fmac_f32_e32 v3, 0xbf737871, v35
	v_fmac_f32_e32 v32, 0xbf167918, v33
	v_add_f32_e32 v34, v36, v34
	v_fmac_f32_e32 v3, 0x3f167918, v33
	v_mul_f32_e32 v42, v93, v42
	v_fmac_f32_e32 v32, 0x3e9e377a, v34
	v_fmac_f32_e32 v3, 0x3e9e377a, v34
	v_add_f32_e32 v34, v80, v82
	v_fmac_f32_e32 v42, v94, v41
	v_fma_f32 v35, -0.5, v34, v4
	v_sub_f32_e32 v34, v79, v42
	v_mov_b32_e32 v37, v35
	v_fmac_f32_e32 v37, 0x3f737871, v34
	v_sub_f32_e32 v36, v81, v83
	v_sub_f32_e32 v39, v78, v80
	;; [unrolled: 1-line block ×3, first 2 shown]
	v_fmac_f32_e32 v35, 0xbf737871, v34
	v_fmac_f32_e32 v37, 0x3f167918, v36
	v_add_f32_e32 v39, v39, v40
	v_fmac_f32_e32 v35, 0xbf167918, v36
	v_fmac_f32_e32 v37, 0x3e9e377a, v39
	;; [unrolled: 1-line block ×3, first 2 shown]
	v_add_f32_e32 v39, v78, v38
	v_add_f32_e32 v33, v4, v78
	v_fma_f32 v4, -0.5, v39, v4
	v_mov_b32_e32 v39, v4
	v_add_f32_e32 v33, v33, v80
	v_fmac_f32_e32 v39, 0xbf737871, v36
	v_fmac_f32_e32 v4, 0x3f737871, v36
	v_add_f32_e32 v36, v81, v83
	v_add_f32_e32 v33, v33, v82
	v_sub_f32_e32 v40, v80, v78
	v_sub_f32_e32 v41, v82, v38
	v_fma_f32 v36, -0.5, v36, v5
	v_mul_f32_e32 v85, v97, v44
	v_add_f32_e32 v33, v33, v38
	v_fmac_f32_e32 v39, 0x3f167918, v34
	v_add_f32_e32 v40, v40, v41
	v_fmac_f32_e32 v4, 0xbf167918, v34
	v_sub_f32_e32 v41, v78, v38
	v_mov_b32_e32 v38, v36
	v_fmac_f32_e32 v85, v98, v43
	v_fmac_f32_e32 v39, 0x3e9e377a, v40
	;; [unrolled: 1-line block ×4, first 2 shown]
	v_sub_f32_e32 v43, v80, v82
	v_sub_f32_e32 v40, v79, v81
	v_sub_f32_e32 v44, v42, v83
	v_fmac_f32_e32 v36, 0x3f737871, v41
	v_fmac_f32_e32 v38, 0xbf167918, v43
	v_add_f32_e32 v40, v40, v44
	v_fmac_f32_e32 v36, 0x3f167918, v43
	v_add_f32_e32 v34, v5, v79
	v_fmac_f32_e32 v38, 0x3e9e377a, v40
	v_fmac_f32_e32 v36, 0x3e9e377a, v40
	v_add_f32_e32 v40, v79, v42
	v_add_f32_e32 v34, v34, v81
	v_fma_f32 v5, -0.5, v40, v5
	v_add_f32_e32 v34, v34, v83
	v_mov_b32_e32 v40, v5
	v_add_f32_e32 v34, v34, v42
	v_fmac_f32_e32 v40, 0x3f737871, v43
	v_sub_f32_e32 v44, v81, v79
	v_sub_f32_e32 v42, v83, v42
	v_fmac_f32_e32 v5, 0xbf737871, v43
	v_fmac_f32_e32 v40, 0xbf167918, v41
	v_add_f32_e32 v42, v44, v42
	v_fmac_f32_e32 v5, 0x3f167918, v41
	v_mul_f32_e32 v50, v95, v50
	v_fmac_f32_e32 v40, 0x3e9e377a, v42
	v_fmac_f32_e32 v5, 0x3e9e377a, v42
	v_add_f32_e32 v42, v86, v88
	v_mul_f32_e32 v89, v101, v48
	v_fmac_f32_e32 v50, v96, v49
	v_fma_f32 v43, -0.5, v42, v6
	v_fmac_f32_e32 v87, v92, v45
	v_fmac_f32_e32 v89, v102, v47
	v_sub_f32_e32 v42, v85, v50
	v_mov_b32_e32 v45, v43
	v_fmac_f32_e32 v45, 0x3f737871, v42
	v_sub_f32_e32 v44, v87, v89
	v_sub_f32_e32 v47, v84, v86
	v_sub_f32_e32 v48, v46, v88
	v_fmac_f32_e32 v43, 0xbf737871, v42
	v_fmac_f32_e32 v45, 0x3f167918, v44
	v_add_f32_e32 v47, v47, v48
	v_fmac_f32_e32 v43, 0xbf167918, v44
	v_fmac_f32_e32 v45, 0x3e9e377a, v47
	;; [unrolled: 1-line block ×3, first 2 shown]
	v_add_f32_e32 v47, v84, v46
	v_add_f32_e32 v41, v6, v84
	v_fma_f32 v6, -0.5, v47, v6
	v_mov_b32_e32 v47, v6
	v_add_f32_e32 v41, v41, v86
	v_fmac_f32_e32 v47, 0xbf737871, v44
	v_fmac_f32_e32 v6, 0x3f737871, v44
	v_add_f32_e32 v44, v87, v89
	v_add_f32_e32 v41, v41, v88
	v_sub_f32_e32 v48, v86, v84
	v_sub_f32_e32 v49, v88, v46
	v_fma_f32 v44, -0.5, v44, v7
	v_add_f32_e32 v41, v41, v46
	v_fmac_f32_e32 v47, 0x3f167918, v42
	v_add_f32_e32 v48, v48, v49
	v_fmac_f32_e32 v6, 0xbf167918, v42
	v_sub_f32_e32 v49, v84, v46
	v_mov_b32_e32 v46, v44
	v_fmac_f32_e32 v47, 0x3e9e377a, v48
	v_fmac_f32_e32 v6, 0x3e9e377a, v48
	;; [unrolled: 1-line block ×3, first 2 shown]
	v_sub_f32_e32 v51, v86, v88
	v_sub_f32_e32 v48, v85, v87
	;; [unrolled: 1-line block ×3, first 2 shown]
	v_fmac_f32_e32 v44, 0x3f737871, v49
	v_fmac_f32_e32 v46, 0xbf167918, v51
	v_add_f32_e32 v48, v48, v55
	v_fmac_f32_e32 v44, 0x3f167918, v51
	v_add_f32_e32 v42, v7, v85
	v_fmac_f32_e32 v46, 0x3e9e377a, v48
	v_fmac_f32_e32 v44, 0x3e9e377a, v48
	v_add_f32_e32 v48, v85, v50
	v_add_f32_e32 v42, v42, v87
	v_fmac_f32_e32 v7, -0.5, v48
	v_add_f32_e32 v42, v42, v89
	v_mov_b32_e32 v48, v7
	v_add_f32_e32 v42, v42, v50
	v_fmac_f32_e32 v48, 0x3f737871, v51
	v_sub_f32_e32 v55, v87, v85
	v_sub_f32_e32 v50, v89, v50
	v_fmac_f32_e32 v7, 0xbf737871, v51
	v_fmac_f32_e32 v48, 0xbf167918, v49
	v_add_f32_e32 v50, v55, v50
	v_fmac_f32_e32 v7, 0x3f167918, v49
	v_mul_f32_e32 v73, v103, v59
	v_mul_f32_e32 v91, v62, v61
	v_fmac_f32_e32 v48, 0x3e9e377a, v50
	v_fmac_f32_e32 v7, 0x3e9e377a, v50
	v_add_f32_e32 v50, v65, v67
	v_fmac_f32_e32 v73, v104, v58
	v_fmac_f32_e32 v91, v63, v60
	v_fma_f32 v58, -0.5, v50, v8
	v_sub_f32_e32 v50, v66, v91
	v_mov_b32_e32 v60, v58
	v_fmac_f32_e32 v60, 0x3f737871, v50
	v_sub_f32_e32 v51, v68, v73
	v_sub_f32_e32 v55, v90, v65
	;; [unrolled: 1-line block ×3, first 2 shown]
	v_fmac_f32_e32 v58, 0xbf737871, v50
	v_fmac_f32_e32 v60, 0x3f167918, v51
	v_add_f32_e32 v55, v55, v59
	v_fmac_f32_e32 v58, 0xbf167918, v51
	v_fmac_f32_e32 v60, 0x3e9e377a, v55
	;; [unrolled: 1-line block ×3, first 2 shown]
	v_add_f32_e32 v55, v90, v74
	v_add_f32_e32 v49, v8, v90
	v_fma_f32 v8, -0.5, v55, v8
	v_mov_b32_e32 v62, v8
	v_fmac_f32_e32 v62, 0xbf737871, v51
	v_sub_f32_e32 v55, v65, v90
	v_sub_f32_e32 v59, v67, v74
	v_fmac_f32_e32 v8, 0x3f737871, v51
	v_add_f32_e32 v51, v68, v73
	v_add_f32_e32 v55, v55, v59
	v_fma_f32 v59, -0.5, v51, v9
	v_fmac_f32_e32 v62, 0x3f167918, v50
	v_fmac_f32_e32 v8, 0xbf167918, v50
	v_sub_f32_e32 v51, v90, v74
	v_mov_b32_e32 v61, v59
	v_add_f32_e32 v49, v49, v65
	v_fmac_f32_e32 v62, 0x3e9e377a, v55
	v_fmac_f32_e32 v8, 0x3e9e377a, v55
	;; [unrolled: 1-line block ×3, first 2 shown]
	v_sub_f32_e32 v55, v65, v67
	v_sub_f32_e32 v63, v66, v68
	v_sub_f32_e32 v65, v91, v73
	v_fmac_f32_e32 v59, 0x3f737871, v51
	v_fmac_f32_e32 v61, 0xbf167918, v55
	v_add_f32_e32 v63, v63, v65
	v_fmac_f32_e32 v59, 0x3f167918, v55
	v_fmac_f32_e32 v61, 0x3e9e377a, v63
	;; [unrolled: 1-line block ×3, first 2 shown]
	v_add_f32_e32 v63, v66, v91
	v_add_f32_e32 v50, v9, v66
	v_fmac_f32_e32 v9, -0.5, v63
	v_mov_b32_e32 v63, v9
	v_add_f32_e32 v50, v50, v68
	v_fmac_f32_e32 v63, 0x3f737871, v55
	v_sub_f32_e32 v65, v68, v66
	v_sub_f32_e32 v66, v73, v91
	v_fmac_f32_e32 v9, 0xbf737871, v55
	v_add_f32_e32 v49, v49, v67
	v_add_f32_e32 v50, v50, v73
	v_fmac_f32_e32 v63, 0xbf167918, v51
	v_add_f32_e32 v65, v65, v66
	v_fmac_f32_e32 v9, 0x3f167918, v51
	v_add_f32_e32 v49, v49, v74
	v_add_f32_e32 v50, v50, v91
	v_fmac_f32_e32 v63, 0x3e9e377a, v65
	v_fmac_f32_e32 v9, 0x3e9e377a, v65
	ds_write2_b64 v64, v[10:11], v[25:26] offset1:56
	ds_write2_b64 v14, v[23:24], v[31:32] offset0:48 offset1:104
	ds_write2_b64 v16, v[19:20], v[27:28] offset0:96 offset1:152
	;; [unrolled: 1-line block ×11, first 2 shown]
	ds_write_b64 v64, v[58:59] offset:10752
	s_waitcnt lgkmcnt(0)
	; wave barrier
	s_waitcnt lgkmcnt(0)
	s_and_saveexec_b64 s[2:3], s[0:1]
	s_cbranch_execz .LBB0_37
; %bb.36:
	v_mul_lo_u32 v0, s5, v56
	v_mul_lo_u32 v1, s4, v57
	v_mad_u64_u32 v[4:5], s[0:1], s4, v56, 0
	v_mov_b32_e32 v7, s11
	v_lshl_add_u32 v6, v54, 3, 0
	v_add3_u32 v5, v5, v1, v0
	v_lshlrev_b64 v[4:5], 3, v[4:5]
	v_mov_b32_e32 v55, 0
	v_add_co_u32_e32 v8, vcc, s10, v4
	v_addc_co_u32_e32 v7, vcc, v7, v5, vcc
	v_lshlrev_b64 v[4:5], 3, v[52:53]
	ds_read2_b64 v[0:3], v6 offset1:56
	v_add_co_u32_e32 v8, vcc, v8, v4
	v_addc_co_u32_e32 v7, vcc, v7, v5, vcc
	v_lshlrev_b64 v[4:5], 3, v[54:55]
	v_add_u32_e32 v9, 0x800, v6
	v_add_co_u32_e32 v4, vcc, v8, v4
	v_addc_co_u32_e32 v5, vcc, v7, v5, vcc
	s_waitcnt lgkmcnt(0)
	global_store_dwordx2 v[4:5], v[0:1], off
	v_add_u32_e32 v0, 56, v54
	v_mov_b32_e32 v1, v55
	v_lshlrev_b64 v[0:1], 3, v[0:1]
	v_add_u32_e32 v4, 0x70, v54
	v_add_co_u32_e32 v0, vcc, v8, v0
	v_addc_co_u32_e32 v1, vcc, v7, v1, vcc
	global_store_dwordx2 v[0:1], v[2:3], off
	v_mov_b32_e32 v5, v55
	ds_read2_b64 v[0:3], v6 offset0:112 offset1:168
	v_lshlrev_b64 v[4:5], 3, v[4:5]
	v_add_co_u32_e32 v4, vcc, v8, v4
	v_addc_co_u32_e32 v5, vcc, v7, v5, vcc
	s_waitcnt lgkmcnt(0)
	global_store_dwordx2 v[4:5], v[0:1], off
	v_add_u32_e32 v0, 0xa8, v54
	v_mov_b32_e32 v1, v55
	v_lshlrev_b64 v[0:1], 3, v[0:1]
	v_add_u32_e32 v4, 0xe0, v54
	v_add_co_u32_e32 v0, vcc, v8, v0
	v_addc_co_u32_e32 v1, vcc, v7, v1, vcc
	global_store_dwordx2 v[0:1], v[2:3], off
	v_add_u32_e32 v0, 0x400, v6
	v_mov_b32_e32 v5, v55
	ds_read2_b64 v[0:3], v0 offset0:96 offset1:152
	v_lshlrev_b64 v[4:5], 3, v[4:5]
	v_add_co_u32_e32 v4, vcc, v8, v4
	v_addc_co_u32_e32 v5, vcc, v7, v5, vcc
	s_waitcnt lgkmcnt(0)
	global_store_dwordx2 v[4:5], v[0:1], off
	v_add_u32_e32 v0, 0x118, v54
	v_mov_b32_e32 v1, v55
	v_lshlrev_b64 v[0:1], 3, v[0:1]
	v_add_u32_e32 v4, 0x150, v54
	v_add_co_u32_e32 v0, vcc, v8, v0
	v_addc_co_u32_e32 v1, vcc, v7, v1, vcc
	global_store_dwordx2 v[0:1], v[2:3], off
	v_mov_b32_e32 v5, v55
	ds_read2_b64 v[0:3], v9 offset0:80 offset1:136
	v_lshlrev_b64 v[4:5], 3, v[4:5]
	v_add_co_u32_e32 v4, vcc, v8, v4
	v_addc_co_u32_e32 v5, vcc, v7, v5, vcc
	s_waitcnt lgkmcnt(0)
	global_store_dwordx2 v[4:5], v[0:1], off
	v_add_u32_e32 v0, 0x188, v54
	v_mov_b32_e32 v1, v55
	v_lshlrev_b64 v[0:1], 3, v[0:1]
	v_add_u32_e32 v4, 0x1c0, v54
	v_add_co_u32_e32 v0, vcc, v8, v0
	v_addc_co_u32_e32 v1, vcc, v7, v1, vcc
	global_store_dwordx2 v[0:1], v[2:3], off
	v_mov_b32_e32 v5, v55
	ds_read2_b64 v[0:3], v9 offset0:192 offset1:248
	v_lshlrev_b64 v[4:5], 3, v[4:5]
	v_add_u32_e32 v9, 0x1000, v6
	v_add_co_u32_e32 v4, vcc, v8, v4
	v_addc_co_u32_e32 v5, vcc, v7, v5, vcc
	s_waitcnt lgkmcnt(0)
	global_store_dwordx2 v[4:5], v[0:1], off
	v_add_u32_e32 v0, 0x1f8, v54
	v_mov_b32_e32 v1, v55
	v_lshlrev_b64 v[0:1], 3, v[0:1]
	v_add_u32_e32 v4, 0x230, v54
	v_add_co_u32_e32 v0, vcc, v8, v0
	v_addc_co_u32_e32 v1, vcc, v7, v1, vcc
	global_store_dwordx2 v[0:1], v[2:3], off
	v_mov_b32_e32 v5, v55
	ds_read2_b64 v[0:3], v9 offset0:48 offset1:104
	v_lshlrev_b64 v[4:5], 3, v[4:5]
	v_add_co_u32_e32 v4, vcc, v8, v4
	v_addc_co_u32_e32 v5, vcc, v7, v5, vcc
	s_waitcnt lgkmcnt(0)
	global_store_dwordx2 v[4:5], v[0:1], off
	v_add_u32_e32 v0, 0x268, v54
	v_mov_b32_e32 v1, v55
	v_lshlrev_b64 v[0:1], 3, v[0:1]
	v_add_u32_e32 v4, 0x2a0, v54
	v_add_co_u32_e32 v0, vcc, v8, v0
	v_addc_co_u32_e32 v1, vcc, v7, v1, vcc
	global_store_dwordx2 v[0:1], v[2:3], off
	v_mov_b32_e32 v5, v55
	ds_read2_b64 v[0:3], v9 offset0:160 offset1:216
	v_lshlrev_b64 v[4:5], 3, v[4:5]
	v_add_u32_e32 v9, 0x1800, v6
	v_add_co_u32_e32 v4, vcc, v8, v4
	v_addc_co_u32_e32 v5, vcc, v7, v5, vcc
	s_waitcnt lgkmcnt(0)
	global_store_dwordx2 v[4:5], v[0:1], off
	v_add_u32_e32 v0, 0x2d8, v54
	v_mov_b32_e32 v1, v55
	v_lshlrev_b64 v[0:1], 3, v[0:1]
	v_add_u32_e32 v4, 0x310, v54
	v_add_co_u32_e32 v0, vcc, v8, v0
	v_addc_co_u32_e32 v1, vcc, v7, v1, vcc
	global_store_dwordx2 v[0:1], v[2:3], off
	v_mov_b32_e32 v5, v55
	ds_read2_b64 v[0:3], v9 offset0:16 offset1:72
	v_lshlrev_b64 v[4:5], 3, v[4:5]
	v_add_co_u32_e32 v4, vcc, v8, v4
	v_addc_co_u32_e32 v5, vcc, v7, v5, vcc
	s_waitcnt lgkmcnt(0)
	global_store_dwordx2 v[4:5], v[0:1], off
	v_add_u32_e32 v0, 0x348, v54
	v_mov_b32_e32 v1, v55
	v_lshlrev_b64 v[0:1], 3, v[0:1]
	v_add_u32_e32 v4, 0x380, v54
	v_add_co_u32_e32 v0, vcc, v8, v0
	v_addc_co_u32_e32 v1, vcc, v7, v1, vcc
	global_store_dwordx2 v[0:1], v[2:3], off
	v_mov_b32_e32 v5, v55
	ds_read2_b64 v[0:3], v9 offset0:128 offset1:184
	v_lshlrev_b64 v[4:5], 3, v[4:5]
	v_add_co_u32_e32 v4, vcc, v8, v4
	v_addc_co_u32_e32 v5, vcc, v7, v5, vcc
	s_waitcnt lgkmcnt(0)
	global_store_dwordx2 v[4:5], v[0:1], off
	v_add_u32_e32 v0, 0x3b8, v54
	v_mov_b32_e32 v1, v55
	v_lshlrev_b64 v[0:1], 3, v[0:1]
	v_add_u32_e32 v4, 0x3f0, v54
	v_add_co_u32_e32 v0, vcc, v8, v0
	v_addc_co_u32_e32 v1, vcc, v7, v1, vcc
	global_store_dwordx2 v[0:1], v[2:3], off
	v_add_u32_e32 v0, 0x1c00, v6
	v_mov_b32_e32 v5, v55
	ds_read2_b64 v[0:3], v0 offset0:112 offset1:168
	v_lshlrev_b64 v[4:5], 3, v[4:5]
	v_add_co_u32_e32 v4, vcc, v8, v4
	v_addc_co_u32_e32 v5, vcc, v7, v5, vcc
	s_waitcnt lgkmcnt(0)
	global_store_dwordx2 v[4:5], v[0:1], off
	v_add_u32_e32 v0, 0x428, v54
	v_mov_b32_e32 v1, v55
	v_lshlrev_b64 v[0:1], 3, v[0:1]
	v_add_u32_e32 v4, 0x460, v54
	v_add_co_u32_e32 v0, vcc, v8, v0
	v_addc_co_u32_e32 v1, vcc, v7, v1, vcc
	global_store_dwordx2 v[0:1], v[2:3], off
	v_add_u32_e32 v0, 0x2000, v6
	;; [unrolled: 15-line block ×3, first 2 shown]
	v_mov_b32_e32 v5, v55
	ds_read2_b64 v[0:3], v0 offset0:80 offset1:136
	v_lshlrev_b64 v[4:5], 3, v[4:5]
	v_add_co_u32_e32 v4, vcc, v8, v4
	v_addc_co_u32_e32 v5, vcc, v7, v5, vcc
	s_waitcnt lgkmcnt(0)
	global_store_dwordx2 v[4:5], v[0:1], off
	v_add_u32_e32 v0, 0x508, v54
	v_mov_b32_e32 v1, v55
	v_lshlrev_b64 v[0:1], 3, v[0:1]
	v_add_u32_e32 v54, 0x540, v54
	v_add_co_u32_e32 v0, vcc, v8, v0
	v_addc_co_u32_e32 v1, vcc, v7, v1, vcc
	global_store_dwordx2 v[0:1], v[2:3], off
	ds_read_b64 v[0:1], v6 offset:10752
	v_lshlrev_b64 v[2:3], 3, v[54:55]
	v_add_co_u32_e32 v2, vcc, v8, v2
	v_addc_co_u32_e32 v3, vcc, v7, v3, vcc
	s_waitcnt lgkmcnt(0)
	global_store_dwordx2 v[2:3], v[0:1], off
.LBB0_37:
	s_endpgm
	.section	.rodata,"a",@progbits
	.p2align	6, 0x0
	.amdhsa_kernel fft_rtc_fwd_len1400_factors_2_2_2_5_7_5_wgs_56_tpt_56_halfLds_sp_op_CI_CI_unitstride_sbrr_C2R_dirReg
		.amdhsa_group_segment_fixed_size 0
		.amdhsa_private_segment_fixed_size 0
		.amdhsa_kernarg_size 104
		.amdhsa_user_sgpr_count 6
		.amdhsa_user_sgpr_private_segment_buffer 1
		.amdhsa_user_sgpr_dispatch_ptr 0
		.amdhsa_user_sgpr_queue_ptr 0
		.amdhsa_user_sgpr_kernarg_segment_ptr 1
		.amdhsa_user_sgpr_dispatch_id 0
		.amdhsa_user_sgpr_flat_scratch_init 0
		.amdhsa_user_sgpr_private_segment_size 0
		.amdhsa_uses_dynamic_stack 0
		.amdhsa_system_sgpr_private_segment_wavefront_offset 0
		.amdhsa_system_sgpr_workgroup_id_x 1
		.amdhsa_system_sgpr_workgroup_id_y 0
		.amdhsa_system_sgpr_workgroup_id_z 0
		.amdhsa_system_sgpr_workgroup_info 0
		.amdhsa_system_vgpr_workitem_id 0
		.amdhsa_next_free_vgpr 114
		.amdhsa_next_free_sgpr 28
		.amdhsa_reserve_vcc 1
		.amdhsa_reserve_flat_scratch 0
		.amdhsa_float_round_mode_32 0
		.amdhsa_float_round_mode_16_64 0
		.amdhsa_float_denorm_mode_32 3
		.amdhsa_float_denorm_mode_16_64 3
		.amdhsa_dx10_clamp 1
		.amdhsa_ieee_mode 1
		.amdhsa_fp16_overflow 0
		.amdhsa_exception_fp_ieee_invalid_op 0
		.amdhsa_exception_fp_denorm_src 0
		.amdhsa_exception_fp_ieee_div_zero 0
		.amdhsa_exception_fp_ieee_overflow 0
		.amdhsa_exception_fp_ieee_underflow 0
		.amdhsa_exception_fp_ieee_inexact 0
		.amdhsa_exception_int_div_zero 0
	.end_amdhsa_kernel
	.text
.Lfunc_end0:
	.size	fft_rtc_fwd_len1400_factors_2_2_2_5_7_5_wgs_56_tpt_56_halfLds_sp_op_CI_CI_unitstride_sbrr_C2R_dirReg, .Lfunc_end0-fft_rtc_fwd_len1400_factors_2_2_2_5_7_5_wgs_56_tpt_56_halfLds_sp_op_CI_CI_unitstride_sbrr_C2R_dirReg
                                        ; -- End function
	.section	.AMDGPU.csdata,"",@progbits
; Kernel info:
; codeLenInByte = 16084
; NumSgprs: 32
; NumVgprs: 114
; ScratchSize: 0
; MemoryBound: 0
; FloatMode: 240
; IeeeMode: 1
; LDSByteSize: 0 bytes/workgroup (compile time only)
; SGPRBlocks: 3
; VGPRBlocks: 28
; NumSGPRsForWavesPerEU: 32
; NumVGPRsForWavesPerEU: 114
; Occupancy: 2
; WaveLimiterHint : 1
; COMPUTE_PGM_RSRC2:SCRATCH_EN: 0
; COMPUTE_PGM_RSRC2:USER_SGPR: 6
; COMPUTE_PGM_RSRC2:TRAP_HANDLER: 0
; COMPUTE_PGM_RSRC2:TGID_X_EN: 1
; COMPUTE_PGM_RSRC2:TGID_Y_EN: 0
; COMPUTE_PGM_RSRC2:TGID_Z_EN: 0
; COMPUTE_PGM_RSRC2:TIDIG_COMP_CNT: 0
	.type	__hip_cuid_275a35b3a88bb1c8,@object ; @__hip_cuid_275a35b3a88bb1c8
	.section	.bss,"aw",@nobits
	.globl	__hip_cuid_275a35b3a88bb1c8
__hip_cuid_275a35b3a88bb1c8:
	.byte	0                               ; 0x0
	.size	__hip_cuid_275a35b3a88bb1c8, 1

	.ident	"AMD clang version 19.0.0git (https://github.com/RadeonOpenCompute/llvm-project roc-6.4.0 25133 c7fe45cf4b819c5991fe208aaa96edf142730f1d)"
	.section	".note.GNU-stack","",@progbits
	.addrsig
	.addrsig_sym __hip_cuid_275a35b3a88bb1c8
	.amdgpu_metadata
---
amdhsa.kernels:
  - .args:
      - .actual_access:  read_only
        .address_space:  global
        .offset:         0
        .size:           8
        .value_kind:     global_buffer
      - .offset:         8
        .size:           8
        .value_kind:     by_value
      - .actual_access:  read_only
        .address_space:  global
        .offset:         16
        .size:           8
        .value_kind:     global_buffer
      - .actual_access:  read_only
        .address_space:  global
        .offset:         24
        .size:           8
        .value_kind:     global_buffer
      - .actual_access:  read_only
        .address_space:  global
        .offset:         32
        .size:           8
        .value_kind:     global_buffer
      - .offset:         40
        .size:           8
        .value_kind:     by_value
      - .actual_access:  read_only
        .address_space:  global
        .offset:         48
        .size:           8
        .value_kind:     global_buffer
      - .actual_access:  read_only
        .address_space:  global
        .offset:         56
        .size:           8
        .value_kind:     global_buffer
      - .offset:         64
        .size:           4
        .value_kind:     by_value
      - .actual_access:  read_only
        .address_space:  global
        .offset:         72
        .size:           8
        .value_kind:     global_buffer
      - .actual_access:  read_only
        .address_space:  global
        .offset:         80
        .size:           8
        .value_kind:     global_buffer
      - .actual_access:  read_only
        .address_space:  global
        .offset:         88
        .size:           8
        .value_kind:     global_buffer
      - .actual_access:  write_only
        .address_space:  global
        .offset:         96
        .size:           8
        .value_kind:     global_buffer
    .group_segment_fixed_size: 0
    .kernarg_segment_align: 8
    .kernarg_segment_size: 104
    .language:       OpenCL C
    .language_version:
      - 2
      - 0
    .max_flat_workgroup_size: 56
    .name:           fft_rtc_fwd_len1400_factors_2_2_2_5_7_5_wgs_56_tpt_56_halfLds_sp_op_CI_CI_unitstride_sbrr_C2R_dirReg
    .private_segment_fixed_size: 0
    .sgpr_count:     32
    .sgpr_spill_count: 0
    .symbol:         fft_rtc_fwd_len1400_factors_2_2_2_5_7_5_wgs_56_tpt_56_halfLds_sp_op_CI_CI_unitstride_sbrr_C2R_dirReg.kd
    .uniform_work_group_size: 1
    .uses_dynamic_stack: false
    .vgpr_count:     114
    .vgpr_spill_count: 0
    .wavefront_size: 64
amdhsa.target:   amdgcn-amd-amdhsa--gfx906
amdhsa.version:
  - 1
  - 2
...

	.end_amdgpu_metadata
